;; amdgpu-corpus repo=ROCm/rocBLAS kind=compiled arch=gfx906 opt=O3
	.amdgcn_target "amdgcn-amd-amdhsa--gfx906"
	.amdhsa_code_object_version 6
	.section	.text._ZL20rocblas_rotmg_kernelILi32EPfPKfEvT0_llS3_llS3_llT1_llS3_lli,"axG",@progbits,_ZL20rocblas_rotmg_kernelILi32EPfPKfEvT0_llS3_llS3_llT1_llS3_lli,comdat
	.globl	_ZL20rocblas_rotmg_kernelILi32EPfPKfEvT0_llS3_llS3_llT1_llS3_lli ; -- Begin function _ZL20rocblas_rotmg_kernelILi32EPfPKfEvT0_llS3_llS3_llT1_llS3_lli
	.p2align	8
	.type	_ZL20rocblas_rotmg_kernelILi32EPfPKfEvT0_llS3_llS3_llT1_llS3_lli,@function
_ZL20rocblas_rotmg_kernelILi32EPfPKfEvT0_llS3_llS3_llT1_llS3_lli: ; @_ZL20rocblas_rotmg_kernelILi32EPfPKfEvT0_llS3_llS3_llT1_llS3_lli
; %bb.0:
	s_load_dword s0, s[4:5], 0x78
	v_lshl_or_b32 v3, s6, 5, v0
	s_waitcnt lgkmcnt(0)
	v_cmp_gt_i32_e32 vcc, s0, v3
	s_and_saveexec_b64 s[0:1], vcc
	s_cbranch_execz .LBB0_4
; %bb.1:
	s_load_dwordx16 s[8:23], s[4:5], 0x0
	s_waitcnt lgkmcnt(0)
	v_mad_u64_u32 v[0:1], s[0:1], s12, v3, 0
	v_mov_b32_e32 v13, s15
	v_mov_b32_e32 v14, s21
	v_mad_u64_u32 v[1:2], s[0:1], s13, v3, v[1:2]
	v_mov_b32_e32 v2, s9
	s_lshl_b64 s[0:1], s[10:11], 2
	v_lshlrev_b64 v[0:1], 2, v[0:1]
	v_mov_b32_e32 v4, s1
	v_add_co_u32_e32 v0, vcc, s8, v0
	v_addc_co_u32_e32 v1, vcc, v2, v1, vcc
	v_add_co_u32_e32 v6, vcc, s0, v0
	v_addc_co_u32_e32 v7, vcc, v1, v4, vcc
	global_load_dword v16, v[6:7], off
	s_load_dwordx8 s[36:43], s[4:5], 0x60
	s_load_dwordx8 s[24:31], s[4:5], 0x40
	v_mad_u64_u32 v[0:1], s[0:1], s18, v3, 0
	s_lshl_b64 s[0:1], s[16:17], 2
	s_waitcnt lgkmcnt(0)
	v_mad_u64_u32 v[8:9], s[4:5], s40, v3, 0
	v_mad_u64_u32 v[4:5], s[2:3], s24, v3, 0
	v_mov_b32_e32 v15, s37
	v_mov_b32_e32 v17, s1
	;; [unrolled: 1-line block ×4, first 2 shown]
	v_mad_u64_u32 v[9:10], s[6:7], s19, v3, v[1:2]
	v_mad_u64_u32 v[10:11], s[6:7], s25, v3, v[2:3]
	;; [unrolled: 1-line block ×3, first 2 shown]
	v_mov_b32_e32 v1, v9
	v_lshlrev_b64 v[0:1], 2, v[0:1]
	v_mov_b32_e32 v5, v10
	v_lshlrev_b64 v[4:5], 2, v[4:5]
	v_add_co_u32_e32 v0, vcc, s14, v0
	v_mov_b32_e32 v9, v11
	v_addc_co_u32_e32 v1, vcc, v13, v1, vcc
	v_lshlrev_b64 v[8:9], 2, v[8:9]
	v_add_co_u32_e32 v10, vcc, s20, v4
	v_addc_co_u32_e32 v11, vcc, v14, v5, vcc
	v_add_co_u32_e32 v13, vcc, s36, v8
	v_addc_co_u32_e32 v14, vcc, v15, v9, vcc
	v_add_co_u32_e32 v4, vcc, s0, v0
	s_lshl_b64 s[2:3], s[22:23], 2
	v_addc_co_u32_e32 v5, vcc, v1, v17, vcc
	v_mov_b32_e32 v2, s3
	v_add_co_u32_e32 v8, vcc, s2, v10
	s_lshl_b64 s[4:5], s[38:39], 2
	v_addc_co_u32_e32 v9, vcc, v11, v2, vcc
	v_mov_b32_e32 v12, s5
	v_add_co_u32_e32 v0, vcc, s4, v13
	v_addc_co_u32_e32 v1, vcc, v14, v12, vcc
	s_mov_b64 s[0:1], 0
                                        ; implicit-def: $vgpr15
                                        ; implicit-def: $vgpr2
                                        ; implicit-def: $vgpr14
                                        ; implicit-def: $vgpr13
	s_waitcnt vmcnt(0)
	v_cmp_ngt_f32_e32 vcc, 0, v16
	s_and_saveexec_b64 s[2:3], vcc
	s_xor_b64 s[4:5], exec, s[2:3]
	s_cbranch_execnz .LBB0_5
; %bb.2:
	s_andn2_saveexec_b64 s[2:3], s[4:5]
	s_cbranch_execnz .LBB0_36
.LBB0_3:
	s_or_b64 exec, exec, s[2:3]
	s_and_b64 exec, exec, s[0:1]
	s_cbranch_execnz .LBB0_37
.LBB0_4:
	s_endpgm
.LBB0_5:
	v_mad_u64_u32 v[10:11], s[0:1], s30, v3, 0
	v_mov_b32_e32 v12, s27
	v_mov_b32_e32 v2, v11
	v_mad_u64_u32 v[2:3], s[0:1], s31, v3, v[2:3]
	s_lshl_b64 s[0:1], s[28:29], 2
	v_mov_b32_e32 v11, v2
	v_lshlrev_b64 v[2:3], 2, v[10:11]
	v_mov_b32_e32 v11, s1
	v_add_co_u32_e32 v2, vcc, s26, v2
	v_addc_co_u32_e32 v3, vcc, v12, v3, vcc
	v_add_co_u32_e32 v10, vcc, s0, v2
	v_addc_co_u32_e32 v11, vcc, v3, v11, vcc
	global_load_dword v19, v[4:5], off
	global_load_dword v17, v[10:11], off
	s_waitcnt vmcnt(0)
	v_mul_f32_e32 v12, v19, v17
	v_cmp_eq_f32_e32 vcc, 0, v12
	s_and_saveexec_b64 s[0:1], vcc
	s_xor_b64 s[0:1], exec, s[0:1]
	s_cbranch_execz .LBB0_7
; %bb.6:
	v_mov_b32_e32 v2, -2.0
	global_store_dword v[0:1], v2, off
                                        ; implicit-def: $vgpr4_vgpr5
                                        ; implicit-def: $vgpr6_vgpr7
                                        ; implicit-def: $vgpr8_vgpr9
                                        ; implicit-def: $vgpr16
                                        ; implicit-def: $vgpr17
                                        ; implicit-def: $vgpr19
                                        ; implicit-def: $vgpr10_vgpr11
.LBB0_7:
	s_or_saveexec_b64 s[6:7], s[0:1]
	v_mov_b32_e32 v2, 0
	v_mov_b32_e32 v15, -2.0
	v_mov_b32_e32 v3, 0
	v_mov_b32_e32 v14, 0
	;; [unrolled: 1-line block ×3, first 2 shown]
	s_xor_b64 exec, exec, s[6:7]
	s_cbranch_execz .LBB0_35
; %bb.8:
	global_load_dword v18, v[8:9], off
	v_mul_f32_e32 v3, v17, v12
                                        ; implicit-def: $vgpr15
                                        ; implicit-def: $vgpr13
	s_waitcnt vmcnt(0)
	v_mul_f32_e32 v20, v16, v18
	v_mul_f32_e32 v2, v18, v20
	v_cmp_ngt_f32_e64 s[0:1], |v2|, |v3|
                                        ; implicit-def: $vgpr2
	s_and_saveexec_b64 s[2:3], s[0:1]
	s_xor_b64 s[0:1], exec, s[2:3]
	s_cbranch_execz .LBB0_14
; %bb.9:
	v_cmp_ngt_f32_e32 vcc, 0, v3
                                        ; implicit-def: $vgpr2
                                        ; implicit-def: $vgpr13
	s_and_saveexec_b64 s[2:3], vcc
	s_xor_b64 s[2:3], exec, s[2:3]
	s_cbranch_execz .LBB0_11
; %bb.10:
	v_div_scale_f32 v2, s[8:9], v12, v12, v20
	v_rcp_f32_e32 v3, v2
	v_fma_f32 v13, -v2, v3, 1.0
	v_fmac_f32_e32 v3, v13, v3
	v_div_scale_f32 v13, vcc, v20, v12, v20
	v_mul_f32_e32 v14, v13, v3
	v_fma_f32 v15, -v2, v14, v13
	v_fmac_f32_e32 v14, v15, v3
	v_fma_f32 v2, -v2, v14, v13
	v_div_fmas_f32 v2, v2, v3, v14
	v_div_scale_f32 v3, s[8:9], v17, v17, v18
	v_div_fixup_f32 v2, v2, v12, v20
	v_rcp_f32_e32 v13, v3
	v_fma_f32 v14, -v3, v13, 1.0
	v_fmac_f32_e32 v13, v14, v13
	v_div_scale_f32 v14, vcc, v18, v17, v18
	v_mul_f32_e32 v15, v14, v13
	v_fma_f32 v20, -v3, v15, v14
	v_fmac_f32_e32 v15, v20, v13
	v_fma_f32 v3, -v3, v15, v14
	v_div_fmas_f32 v3, v3, v13, v15
	v_div_fixup_f32 v13, v3, v17, v18
	v_fma_f32 v3, v13, v2, 1.0
	v_div_scale_f32 v14, s[8:9], v3, v3, v19
	v_rcp_f32_e32 v15, v14
	v_fma_f32 v17, -v14, v15, 1.0
	v_fmac_f32_e32 v15, v17, v15
	v_div_scale_f32 v17, vcc, v19, v3, v19
	v_mul_f32_e32 v18, v17, v15
	v_fma_f32 v20, -v14, v18, v17
	v_fmac_f32_e32 v18, v20, v15
	v_fma_f32 v14, -v14, v18, v17
	v_div_fmas_f32 v14, v14, v15, v18
	v_div_scale_f32 v15, s[8:9], v3, v3, v16
	v_div_fixup_f32 v14, v14, v3, v19
	v_rcp_f32_e32 v17, v15
	v_fma_f32 v18, -v15, v17, 1.0
	v_fmac_f32_e32 v17, v18, v17
	v_div_scale_f32 v18, vcc, v16, v3, v16
	v_mul_f32_e32 v19, v18, v17
	v_fma_f32 v20, -v15, v19, v18
	v_fmac_f32_e32 v19, v20, v17
	v_fma_f32 v15, -v15, v19, v18
	v_div_fmas_f32 v15, v15, v17, v19
	v_div_fixup_f32 v15, v15, v3, v16
	global_store_dword v[4:5], v15, off
	global_store_dword v[6:7], v14, off
	global_load_dword v10, v[10:11], off
	s_waitcnt vmcnt(0)
	v_mul_f32_e32 v3, v3, v10
	global_store_dword v[8:9], v3, off
.LBB0_11:
	s_or_saveexec_b64 s[2:3], s[2:3]
	v_mov_b32_e32 v15, 1.0
	s_xor_b64 exec, exec, s[2:3]
	s_cbranch_execz .LBB0_13
; %bb.12:
	v_mov_b32_e32 v2, 0
	v_mov_b32_e32 v15, -1.0
	v_mov_b32_e32 v13, 0
	global_store_dword v[8:9], v2, off
	global_store_dword v[4:5], v2, off
	;; [unrolled: 1-line block ×3, first 2 shown]
.LBB0_13:
	s_or_b64 exec, exec, s[2:3]
                                        ; implicit-def: $vgpr18
                                        ; implicit-def: $vgpr17
                                        ; implicit-def: $vgpr20
                                        ; implicit-def: $vgpr16
.LBB0_14:
	s_or_saveexec_b64 s[2:3], s[0:1]
	v_mov_b32_e32 v14, 0
	v_mov_b32_e32 v3, 0
	s_xor_b64 exec, exec, s[2:3]
	s_cbranch_execz .LBB0_18
; %bb.15:
	v_div_scale_f32 v2, s[0:1], v18, v18, -v17
	v_div_scale_f32 v3, s[0:1], v20, v20, v12
	v_div_scale_f32 v10, vcc, -v17, v18, -v17
	v_div_scale_f32 v11, s[0:1], v12, v20, v12
	v_rcp_f32_e32 v13, v2
	v_rcp_f32_e32 v14, v3
	v_fma_f32 v15, -v2, v13, 1.0
	v_fmac_f32_e32 v13, v15, v13
	v_fma_f32 v19, -v3, v14, 1.0
	v_fmac_f32_e32 v14, v19, v14
	v_mul_f32_e32 v15, v10, v13
	v_mul_f32_e32 v19, v11, v14
	v_fma_f32 v21, -v2, v15, v10
	v_fma_f32 v22, -v3, v19, v11
	v_fmac_f32_e32 v15, v21, v13
	v_fmac_f32_e32 v19, v22, v14
	v_fma_f32 v2, -v2, v15, v10
	v_fma_f32 v3, -v3, v19, v11
	v_div_fmas_f32 v2, v2, v13, v15
	s_mov_b64 vcc, s[0:1]
	v_div_fmas_f32 v10, v3, v14, v19
	v_mov_b32_e32 v15, -1.0
	v_div_fixup_f32 v3, v2, v18, -v17
	v_div_fixup_f32 v14, v10, v20, v12
	v_fma_f32 v2, -v3, v14, 1.0
	v_cmp_lt_f32_e32 vcc, 0, v2
	s_and_saveexec_b64 s[0:1], vcc
	s_cbranch_execz .LBB0_17
; %bb.16:
	v_div_scale_f32 v10, s[8:9], v2, v2, v16
	v_div_scale_f32 v11, vcc, v16, v2, v16
	v_rcp_f32_e32 v13, v10
	v_fma_f32 v15, -v10, v13, 1.0
	v_fmac_f32_e32 v13, v15, v13
	v_mul_f32_e32 v15, v11, v13
	v_fma_f32 v17, -v10, v15, v11
	v_fmac_f32_e32 v15, v17, v13
	v_fma_f32 v10, -v10, v15, v11
	v_div_fmas_f32 v10, v10, v13, v15
	v_div_fixup_f32 v10, v10, v2, v16
	global_store_dword v[6:7], v10, off
	global_load_dword v10, v[4:5], off
	s_waitcnt vmcnt(0)
	v_div_scale_f32 v11, s[8:9], v2, v2, v10
	v_div_scale_f32 v13, vcc, v10, v2, v10
	v_rcp_f32_e32 v15, v11
	v_fma_f32 v16, -v11, v15, 1.0
	v_fmac_f32_e32 v15, v16, v15
	v_mul_f32_e32 v16, v13, v15
	v_fma_f32 v17, -v11, v16, v13
	v_fmac_f32_e32 v16, v17, v15
	v_fma_f32 v11, -v11, v16, v13
	v_div_fmas_f32 v11, v11, v15, v16
	v_mov_b32_e32 v15, 0
	v_div_fixup_f32 v10, v11, v2, v10
	global_store_dword v[4:5], v10, off
	global_load_dword v10, v[8:9], off
	s_waitcnt vmcnt(0)
	v_mul_f32_e32 v2, v2, v10
	global_store_dword v[8:9], v2, off
.LBB0_17:
	s_or_b64 exec, exec, s[0:1]
	v_mov_b32_e32 v13, 0
	v_mov_b32_e32 v2, 0
.LBB0_18:
	s_or_b64 exec, exec, s[2:3]
	global_load_dword v11, v[6:7], off
	s_waitcnt vmcnt(0)
	v_cmp_neq_f32_e32 vcc, 0, v11
	s_and_saveexec_b64 s[8:9], vcc
	s_cbranch_execz .LBB0_26
; %bb.19:
	s_mov_b32 s14, 0x33800000
	s_mov_b32 s15, 0x4b800000
	v_cmp_ge_f32_e64 s[0:1], s14, v11
	v_cmp_le_f32_e64 s[2:3], s15, v11
	v_cmp_nge_f32_e32 vcc, s14, v11
	s_or_b64 s[0:1], s[0:1], s[2:3]
	s_and_saveexec_b64 s[10:11], s[0:1]
	s_cbranch_execz .LBB0_25
; %bb.20:
	v_not_b32_e32 v10, 23
	v_cndmask_b32_e32 v16, 24, v10, vcc
	v_ldexp_f32 v11, v11, v16
	global_store_dword v[6:7], v11, off
	global_load_dword v17, v[8:9], off
	v_mov_b32_e32 v11, 0x39800000
	v_mov_b32_e32 v16, 0x45800000
	v_cndmask_b32_e32 v18, v11, v16, vcc
	v_cmp_eq_f32_e32 vcc, 0, v15
	v_cndmask_b32_e32 v14, 1.0, v14, vcc
	v_cndmask_b32_e64 v2, v2, 1.0, vcc
	v_cndmask_b32_e32 v3, -1.0, v3, vcc
	v_mul_f32_e32 v2, v2, v18
	v_mul_f32_e32 v14, v14, v18
	s_waitcnt vmcnt(0)
	v_mul_f32_e32 v17, v18, v17
	global_store_dword v[8:9], v17, off
	global_load_dword v17, v[6:7], off
	s_waitcnt vmcnt(0)
	v_cmp_ge_f32_e64 s[0:1], s14, v17
	v_cmp_le_f32_e64 s[2:3], s15, v17
	v_cmp_nge_f32_e64 s[12:13], s14, v17
	s_or_b64 s[0:1], s[0:1], s[2:3]
	s_and_saveexec_b64 s[2:3], s[0:1]
	s_cbranch_execz .LBB0_24
; %bb.21:
	s_mov_b64 s[14:15], 0
	s_mov_b32 s16, 0x33800000
	s_mov_b32 s17, 0x4b800000
.LBB0_22:                               ; =>This Inner Loop Header: Depth=1
	v_cndmask_b32_e64 v3, 24, v10, s[12:13]
	v_ldexp_f32 v3, v17, v3
	global_store_dword v[6:7], v3, off
	global_load_dword v3, v[8:9], off
	v_cndmask_b32_e64 v14, v11, v16, s[12:13]
	v_mul_f32_e32 v2, v14, v2
	s_waitcnt vmcnt(0)
	v_mul_f32_e32 v3, v14, v3
	global_store_dword v[8:9], v3, off
	global_load_dword v17, v[6:7], off
	s_waitcnt vmcnt(0)
	v_cmp_nge_f32_e64 s[12:13], s16, v17
	v_cmp_nle_f32_e64 s[0:1], s17, v17
	s_and_b64 s[0:1], s[12:13], s[0:1]
	s_and_b64 s[0:1], exec, s[0:1]
	s_or_b64 s[14:15], s[0:1], s[14:15]
	s_andn2_b64 exec, exec, s[14:15]
	s_cbranch_execnz .LBB0_22
; %bb.23:
	s_or_b64 exec, exec, s[14:15]
	v_mov_b32_e32 v3, -1.0
.LBB0_24:
	s_or_b64 exec, exec, s[2:3]
	v_cndmask_b32_e64 v13, v13, 1.0, vcc
	v_mov_b32_e32 v15, -1.0
.LBB0_25:
	s_or_b64 exec, exec, s[10:11]
.LBB0_26:
	s_or_b64 exec, exec, s[8:9]
	global_load_dword v6, v[4:5], off
	s_waitcnt vmcnt(0)
	v_cmp_neq_f32_e32 vcc, 0, v6
	s_and_saveexec_b64 s[8:9], vcc
	s_cbranch_execz .LBB0_34
; %bb.27:
	v_cmp_gt_f32_e32 vcc, 0, v6
	v_cndmask_b32_e64 v7, v6, -v6, vcc
	s_mov_b32 s14, 0x33800000
	s_mov_b32 s12, 0x4b800000
	v_cmp_ge_f32_e32 vcc, s14, v7
	v_cmp_le_f32_e64 s[2:3], s12, v7
	v_cmp_nge_f32_e64 s[0:1], s14, v7
	s_or_b64 s[2:3], vcc, s[2:3]
	s_and_saveexec_b64 s[10:11], s[2:3]
	s_cbranch_execz .LBB0_33
; %bb.28:
	v_mov_b32_e32 v8, 0x39800000
	v_mov_b32_e32 v9, 0x45800000
	v_cndmask_b32_e64 v8, v8, v9, s[0:1]
	v_not_b32_e32 v9, 23
	v_cndmask_b32_e64 v9, 24, v9, s[0:1]
	v_cmp_eq_f32_e32 vcc, 0, v15
	v_ldexp_f32 v6, v6, v9
	v_cndmask_b32_e64 v7, v13, 1.0, vcc
	v_cmp_gt_f32_e64 s[0:1], 0, v6
	v_mul_f32_e32 v13, v7, v8
	v_cndmask_b32_e64 v7, v6, -v6, s[0:1]
	v_cndmask_b32_e32 v3, -1.0, v3, vcc
	v_cmp_ge_f32_e64 s[0:1], s14, v7
	v_cmp_le_f32_e64 s[2:3], s12, v7
	v_cndmask_b32_e32 v14, 1.0, v14, vcc
	v_mul_f32_e32 v3, v3, v8
	s_or_b64 s[0:1], s[0:1], s[2:3]
	global_store_dword v[4:5], v6, off
	s_and_saveexec_b64 s[12:13], s[0:1]
	s_cbranch_execz .LBB0_32
; %bb.29:
	v_cmp_nge_f32_e64 s[0:1], s14, v7
	s_mov_b64 s[14:15], 0
	s_and_b64 s[16:17], s[0:1], exec
	s_mov_b32 s20, 0x33800000
	s_mov_b32 s21, 0x4b800000
	v_mov_b32_e32 v3, 0x4b800000
	v_mov_b32_e32 v7, 0x33800000
                                        ; implicit-def: $sgpr18_sgpr19
.LBB0_30:                               ; =>This Inner Loop Header: Depth=1
	v_cndmask_b32_e64 v8, v3, v7, s[16:17]
	v_mul_f32_e32 v6, v8, v6
	v_cndmask_b32_e64 v8, -12, 12, s[16:17]
	v_cmp_gt_f32_e64 s[0:1], 0, v6
	v_ldexp_f32 v13, v13, v8
	v_cndmask_b32_e64 v8, v6, -v6, s[0:1]
	v_cmp_nge_f32_e64 s[0:1], s20, v8
	v_cmp_nle_f32_e64 s[2:3], s21, v8
	s_and_b64 s[2:3], s[0:1], s[2:3]
	s_and_b64 s[2:3], exec, s[2:3]
	s_or_b64 s[14:15], s[2:3], s[14:15]
	s_andn2_b64 s[2:3], s[16:17], exec
	s_and_b64 s[0:1], s[0:1], exec
	s_or_b64 s[0:1], s[2:3], s[0:1]
	s_andn2_b64 s[2:3], s[18:19], exec
	s_and_b64 s[16:17], s[16:17], exec
	s_or_b64 s[18:19], s[2:3], s[16:17]
	s_mov_b64 s[16:17], s[0:1]
	s_andn2_b64 exec, exec, s[14:15]
	s_cbranch_execnz .LBB0_30
; %bb.31:
	s_or_b64 exec, exec, s[14:15]
	v_mov_b32_e32 v3, 0xb9800000
	v_mov_b32_e32 v7, 0xc5800000
	v_cndmask_b32_e64 v3, v3, v7, s[18:19]
	v_mov_b32_e32 v14, 1.0
	global_store_dword v[4:5], v6, off
.LBB0_32:
	s_or_b64 exec, exec, s[12:13]
	v_cndmask_b32_e64 v2, v2, 1.0, vcc
	v_mov_b32_e32 v15, -1.0
.LBB0_33:
	s_or_b64 exec, exec, s[10:11]
.LBB0_34:
	s_or_b64 exec, exec, s[8:9]
.LBB0_35:
	s_or_b64 exec, exec, s[6:7]
	v_cmp_neq_f32_e32 vcc, 0, v12
	s_and_b64 s[0:1], vcc, exec
                                        ; implicit-def: $vgpr8_vgpr9
                                        ; implicit-def: $vgpr4_vgpr5
                                        ; implicit-def: $vgpr6_vgpr7
	s_andn2_saveexec_b64 s[2:3], s[4:5]
	s_cbranch_execz .LBB0_3
.LBB0_36:
	v_mov_b32_e32 v2, 0
	v_mov_b32_e32 v15, -1.0
	s_or_b64 s[0:1], s[0:1], exec
	v_mov_b32_e32 v3, 0
	v_mov_b32_e32 v14, 0
	v_mov_b32_e32 v13, 0
	global_store_dword v[8:9], v2, off
	global_store_dword v[4:5], v2, off
	;; [unrolled: 1-line block ×3, first 2 shown]
	s_or_b64 exec, exec, s[2:3]
	s_and_b64 exec, exec, s[0:1]
	s_cbranch_execz .LBB0_4
.LBB0_37:
	v_cmp_ngt_f32_e32 vcc, 0, v15
                                        ; implicit-def: $vgpr4_vgpr5
                                        ; implicit-def: $vgpr8
                                        ; implicit-def: $vgpr6_vgpr7
	s_and_saveexec_b64 s[0:1], vcc
	s_xor_b64 s[0:1], exec, s[0:1]
; %bb.38:
	v_cmp_eq_f32_e32 vcc, 0, v15
	v_mov_b32_e32 v7, 0
	v_cndmask_b32_e64 v6, 4, 8, vcc
	v_cndmask_b32_e32 v8, v2, v3, vcc
	v_cndmask_b32_e64 v4, 16, 12, vcc
	v_mov_b32_e32 v5, v7
	v_cndmask_b32_e32 v13, v13, v14, vcc
                                        ; implicit-def: $vgpr2
                                        ; implicit-def: $vgpr14
; %bb.39:
	s_andn2_saveexec_b64 s[0:1], s[0:1]
	s_cbranch_execz .LBB0_41
; %bb.40:
	v_mov_b32_e32 v4, 16
	v_mov_b32_e32 v6, 12
	;; [unrolled: 1-line block ×5, first 2 shown]
	global_store_dwordx2 v[0:1], v[2:3], off offset:4
.LBB0_41:
	s_or_b64 exec, exec, s[0:1]
	v_add_co_u32_e32 v2, vcc, v0, v6
	v_addc_co_u32_e32 v3, vcc, v1, v7, vcc
	global_store_dword v[2:3], v8, off
	v_add_co_u32_e32 v2, vcc, v0, v4
	v_addc_co_u32_e32 v3, vcc, v1, v5, vcc
	global_store_dword v[2:3], v13, off
	global_store_dword v[0:1], v15, off
	s_endpgm
	.section	.rodata,"a",@progbits
	.p2align	6, 0x0
	.amdhsa_kernel _ZL20rocblas_rotmg_kernelILi32EPfPKfEvT0_llS3_llS3_llT1_llS3_lli
		.amdhsa_group_segment_fixed_size 0
		.amdhsa_private_segment_fixed_size 0
		.amdhsa_kernarg_size 124
		.amdhsa_user_sgpr_count 6
		.amdhsa_user_sgpr_private_segment_buffer 1
		.amdhsa_user_sgpr_dispatch_ptr 0
		.amdhsa_user_sgpr_queue_ptr 0
		.amdhsa_user_sgpr_kernarg_segment_ptr 1
		.amdhsa_user_sgpr_dispatch_id 0
		.amdhsa_user_sgpr_flat_scratch_init 0
		.amdhsa_user_sgpr_private_segment_size 0
		.amdhsa_uses_dynamic_stack 0
		.amdhsa_system_sgpr_private_segment_wavefront_offset 0
		.amdhsa_system_sgpr_workgroup_id_x 1
		.amdhsa_system_sgpr_workgroup_id_y 0
		.amdhsa_system_sgpr_workgroup_id_z 0
		.amdhsa_system_sgpr_workgroup_info 0
		.amdhsa_system_vgpr_workitem_id 0
		.amdhsa_next_free_vgpr 23
		.amdhsa_next_free_sgpr 44
		.amdhsa_reserve_vcc 1
		.amdhsa_reserve_flat_scratch 0
		.amdhsa_float_round_mode_32 0
		.amdhsa_float_round_mode_16_64 0
		.amdhsa_float_denorm_mode_32 3
		.amdhsa_float_denorm_mode_16_64 3
		.amdhsa_dx10_clamp 1
		.amdhsa_ieee_mode 1
		.amdhsa_fp16_overflow 0
		.amdhsa_exception_fp_ieee_invalid_op 0
		.amdhsa_exception_fp_denorm_src 0
		.amdhsa_exception_fp_ieee_div_zero 0
		.amdhsa_exception_fp_ieee_overflow 0
		.amdhsa_exception_fp_ieee_underflow 0
		.amdhsa_exception_fp_ieee_inexact 0
		.amdhsa_exception_int_div_zero 0
	.end_amdhsa_kernel
	.section	.text._ZL20rocblas_rotmg_kernelILi32EPfPKfEvT0_llS3_llS3_llT1_llS3_lli,"axG",@progbits,_ZL20rocblas_rotmg_kernelILi32EPfPKfEvT0_llS3_llS3_llT1_llS3_lli,comdat
.Lfunc_end0:
	.size	_ZL20rocblas_rotmg_kernelILi32EPfPKfEvT0_llS3_llS3_llT1_llS3_lli, .Lfunc_end0-_ZL20rocblas_rotmg_kernelILi32EPfPKfEvT0_llS3_llS3_llT1_llS3_lli
                                        ; -- End function
	.set _ZL20rocblas_rotmg_kernelILi32EPfPKfEvT0_llS3_llS3_llT1_llS3_lli.num_vgpr, 23
	.set _ZL20rocblas_rotmg_kernelILi32EPfPKfEvT0_llS3_llS3_llT1_llS3_lli.num_agpr, 0
	.set _ZL20rocblas_rotmg_kernelILi32EPfPKfEvT0_llS3_llS3_llT1_llS3_lli.numbered_sgpr, 44
	.set _ZL20rocblas_rotmg_kernelILi32EPfPKfEvT0_llS3_llS3_llT1_llS3_lli.num_named_barrier, 0
	.set _ZL20rocblas_rotmg_kernelILi32EPfPKfEvT0_llS3_llS3_llT1_llS3_lli.private_seg_size, 0
	.set _ZL20rocblas_rotmg_kernelILi32EPfPKfEvT0_llS3_llS3_llT1_llS3_lli.uses_vcc, 1
	.set _ZL20rocblas_rotmg_kernelILi32EPfPKfEvT0_llS3_llS3_llT1_llS3_lli.uses_flat_scratch, 0
	.set _ZL20rocblas_rotmg_kernelILi32EPfPKfEvT0_llS3_llS3_llT1_llS3_lli.has_dyn_sized_stack, 0
	.set _ZL20rocblas_rotmg_kernelILi32EPfPKfEvT0_llS3_llS3_llT1_llS3_lli.has_recursion, 0
	.set _ZL20rocblas_rotmg_kernelILi32EPfPKfEvT0_llS3_llS3_llT1_llS3_lli.has_indirect_call, 0
	.section	.AMDGPU.csdata,"",@progbits
; Kernel info:
; codeLenInByte = 2368
; TotalNumSgprs: 48
; NumVgprs: 23
; ScratchSize: 0
; MemoryBound: 0
; FloatMode: 240
; IeeeMode: 1
; LDSByteSize: 0 bytes/workgroup (compile time only)
; SGPRBlocks: 5
; VGPRBlocks: 5
; NumSGPRsForWavesPerEU: 48
; NumVGPRsForWavesPerEU: 23
; Occupancy: 10
; WaveLimiterHint : 0
; COMPUTE_PGM_RSRC2:SCRATCH_EN: 0
; COMPUTE_PGM_RSRC2:USER_SGPR: 6
; COMPUTE_PGM_RSRC2:TRAP_HANDLER: 0
; COMPUTE_PGM_RSRC2:TGID_X_EN: 1
; COMPUTE_PGM_RSRC2:TGID_Y_EN: 0
; COMPUTE_PGM_RSRC2:TGID_Z_EN: 0
; COMPUTE_PGM_RSRC2:TIDIG_COMP_CNT: 0
	.section	.text._ZL20rocblas_rotmg_kernelILi32EPdPKdEvT0_llS3_llS3_llT1_llS3_lli,"axG",@progbits,_ZL20rocblas_rotmg_kernelILi32EPdPKdEvT0_llS3_llS3_llT1_llS3_lli,comdat
	.globl	_ZL20rocblas_rotmg_kernelILi32EPdPKdEvT0_llS3_llS3_llT1_llS3_lli ; -- Begin function _ZL20rocblas_rotmg_kernelILi32EPdPKdEvT0_llS3_llS3_llT1_llS3_lli
	.p2align	8
	.type	_ZL20rocblas_rotmg_kernelILi32EPdPKdEvT0_llS3_llS3_llT1_llS3_lli,@function
_ZL20rocblas_rotmg_kernelILi32EPdPKdEvT0_llS3_llS3_llT1_llS3_lli: ; @_ZL20rocblas_rotmg_kernelILi32EPdPKdEvT0_llS3_llS3_llT1_llS3_lli
; %bb.0:
	s_load_dword s0, s[4:5], 0x78
	v_lshl_or_b32 v2, s6, 5, v0
	s_waitcnt lgkmcnt(0)
	v_cmp_gt_i32_e32 vcc, s0, v2
	s_and_saveexec_b64 s[0:1], vcc
	s_cbranch_execz .LBB1_4
; %bb.1:
	s_load_dwordx16 s[8:23], s[4:5], 0x0
                                        ; implicit-def: $vgpr18_vgpr19
                                        ; implicit-def: $vgpr16_vgpr17
                                        ; implicit-def: $vgpr10_vgpr11
	s_waitcnt lgkmcnt(0)
	v_mad_u64_u32 v[0:1], s[0:1], s12, v2, 0
	v_mad_u64_u32 v[3:4], s[0:1], s13, v2, v[1:2]
	v_mov_b32_e32 v4, s9
	s_lshl_b64 s[0:1], s[10:11], 3
	v_mov_b32_e32 v1, v3
	v_lshlrev_b64 v[0:1], 3, v[0:1]
	v_mov_b32_e32 v5, s1
	v_add_co_u32_e32 v0, vcc, s8, v0
	v_addc_co_u32_e32 v1, vcc, v4, v1, vcc
	v_add_co_u32_e32 v12, vcc, s0, v0
	v_addc_co_u32_e32 v13, vcc, v1, v5, vcc
	global_load_dwordx2 v[20:21], v[12:13], off
	v_mad_u64_u32 v[0:1], s[0:1], s18, v2, 0
	s_load_dwordx8 s[36:43], s[4:5], 0x60
	s_load_dwordx8 s[24:31], s[4:5], 0x40
	v_mov_b32_e32 v5, s15
	v_mad_u64_u32 v[3:4], s[0:1], s19, v2, v[1:2]
	v_mov_b32_e32 v1, v3
	s_waitcnt lgkmcnt(0)
	v_mad_u64_u32 v[3:4], s[0:1], s24, v2, 0
	v_lshlrev_b64 v[0:1], 3, v[0:1]
	s_lshl_b64 s[0:1], s[16:17], 3
	v_add_co_u32_e32 v6, vcc, s14, v0
	v_mov_b32_e32 v0, v4
	v_addc_co_u32_e32 v5, vcc, v5, v1, vcc
	v_mad_u64_u32 v[0:1], s[2:3], s25, v2, v[0:1]
	v_mov_b32_e32 v7, s1
	v_add_co_u32_e32 v6, vcc, s0, v6
	v_mov_b32_e32 v4, v0
	v_lshlrev_b64 v[0:1], 3, v[3:4]
	v_mad_u64_u32 v[3:4], s[0:1], s40, v2, 0
	v_addc_co_u32_e32 v7, vcc, v5, v7, vcc
	v_mov_b32_e32 v5, s21
	v_add_co_u32_e32 v8, vcc, s20, v0
	v_mov_b32_e32 v0, v4
	v_addc_co_u32_e32 v5, vcc, v5, v1, vcc
	v_mad_u64_u32 v[0:1], s[2:3], s41, v2, v[0:1]
	s_lshl_b64 s[0:1], s[22:23], 3
	v_mov_b32_e32 v9, s1
	v_mov_b32_e32 v4, v0
	v_add_co_u32_e32 v14, vcc, s0, v8
	v_lshlrev_b64 v[0:1], 3, v[3:4]
	v_addc_co_u32_e32 v15, vcc, v5, v9, vcc
	v_mov_b32_e32 v3, s37
	v_add_co_u32_e32 v0, vcc, s36, v0
	v_addc_co_u32_e32 v1, vcc, v3, v1, vcc
	s_lshl_b64 s[0:1], s[38:39], 3
	v_mov_b32_e32 v3, s1
	v_add_co_u32_e64 v4, s[0:1], s0, v0
	v_addc_co_u32_e64 v5, s[0:1], v1, v3, s[0:1]
	s_mov_b64 s[0:1], 0
                                        ; implicit-def: $vgpr0_vgpr1
	s_waitcnt vmcnt(0)
	v_cmp_ngt_f64_e32 vcc, 0, v[20:21]
	s_and_saveexec_b64 s[2:3], vcc
	s_xor_b64 s[4:5], exec, s[2:3]
	s_cbranch_execnz .LBB1_5
; %bb.2:
	s_andn2_saveexec_b64 s[2:3], s[4:5]
	s_cbranch_execnz .LBB1_36
.LBB1_3:
	s_or_b64 exec, exec, s[2:3]
	s_and_b64 exec, exec, s[0:1]
	s_cbranch_execnz .LBB1_37
.LBB1_4:
	s_endpgm
.LBB1_5:
	v_mad_u64_u32 v[0:1], s[0:1], s30, v2, 0
	v_mad_u64_u32 v[1:2], s[0:1], s31, v2, v[1:2]
	v_mov_b32_e32 v2, s27
	s_lshl_b64 s[0:1], s[28:29], 3
	v_lshlrev_b64 v[0:1], 3, v[0:1]
	v_add_co_u32_e32 v0, vcc, s26, v0
	v_addc_co_u32_e32 v1, vcc, v2, v1, vcc
	v_mov_b32_e32 v2, s1
	v_add_co_u32_e32 v24, vcc, s0, v0
	v_addc_co_u32_e32 v25, vcc, v1, v2, vcc
	global_load_dwordx2 v[26:27], v[6:7], off
	global_load_dwordx2 v[22:23], v[24:25], off
	s_waitcnt vmcnt(0)
	v_mul_f64 v[8:9], v[26:27], v[22:23]
	v_cmp_eq_f64_e32 vcc, 0, v[8:9]
	s_and_saveexec_b64 s[0:1], vcc
	s_xor_b64 s[0:1], exec, s[0:1]
	s_cbranch_execz .LBB1_7
; %bb.6:
	v_mov_b32_e32 v0, 0
	v_mov_b32_e32 v1, -2.0
	global_store_dwordx2 v[4:5], v[0:1], off
                                        ; implicit-def: $vgpr6_vgpr7
                                        ; implicit-def: $vgpr12_vgpr13
                                        ; implicit-def: $vgpr14_vgpr15
                                        ; implicit-def: $vgpr20_vgpr21
                                        ; implicit-def: $vgpr22_vgpr23
                                        ; implicit-def: $vgpr26_vgpr27
                                        ; implicit-def: $vgpr24_vgpr25
.LBB1_7:
	s_or_saveexec_b64 s[6:7], s[0:1]
	v_mov_b32_e32 v0, 0
	v_mov_b32_e32 v18, 0
	;; [unrolled: 1-line block ×6, first 2 shown]
	v_mov_b32_e32 v19, -2.0
	v_mov_b32_e32 v3, 0
	v_mov_b32_e32 v17, 0
	;; [unrolled: 1-line block ×3, first 2 shown]
	s_xor_b64 exec, exec, s[6:7]
	s_cbranch_execz .LBB1_35
; %bb.8:
	global_load_dwordx2 v[30:31], v[14:15], off
	v_mul_f64 v[2:3], v[22:23], v[8:9]
                                        ; implicit-def: $vgpr18_vgpr19
                                        ; implicit-def: $vgpr10_vgpr11
	s_waitcnt vmcnt(0)
	v_mul_f64 v[28:29], v[20:21], v[30:31]
	v_mul_f64 v[0:1], v[30:31], v[28:29]
	v_cmp_ngt_f64_e64 s[0:1], |v[0:1]|, |v[2:3]|
                                        ; implicit-def: $vgpr0_vgpr1
	s_and_saveexec_b64 s[2:3], s[0:1]
	s_xor_b64 s[0:1], exec, s[2:3]
	s_cbranch_execz .LBB1_14
; %bb.9:
	v_cmp_ngt_f64_e32 vcc, 0, v[2:3]
                                        ; implicit-def: $vgpr0_vgpr1
                                        ; implicit-def: $vgpr10_vgpr11
	s_and_saveexec_b64 s[2:3], vcc
	s_xor_b64 s[2:3], exec, s[2:3]
	s_cbranch_execz .LBB1_11
; %bb.10:
	v_div_scale_f64 v[0:1], s[8:9], v[8:9], v[8:9], v[28:29]
	v_rcp_f64_e32 v[2:3], v[0:1]
	v_fma_f64 v[10:11], -v[0:1], v[2:3], 1.0
	v_fma_f64 v[2:3], v[2:3], v[10:11], v[2:3]
	v_fma_f64 v[10:11], -v[0:1], v[2:3], 1.0
	v_fma_f64 v[2:3], v[2:3], v[10:11], v[2:3]
	v_div_scale_f64 v[10:11], vcc, v[28:29], v[8:9], v[28:29]
	v_mul_f64 v[16:17], v[10:11], v[2:3]
	v_fma_f64 v[0:1], -v[0:1], v[16:17], v[10:11]
	s_nop 1
	v_div_fmas_f64 v[0:1], v[0:1], v[2:3], v[16:17]
	v_div_scale_f64 v[2:3], s[8:9], v[22:23], v[22:23], v[30:31]
	v_div_fixup_f64 v[0:1], v[0:1], v[8:9], v[28:29]
	v_rcp_f64_e32 v[10:11], v[2:3]
	v_fma_f64 v[16:17], -v[2:3], v[10:11], 1.0
	v_fma_f64 v[10:11], v[10:11], v[16:17], v[10:11]
	v_fma_f64 v[16:17], -v[2:3], v[10:11], 1.0
	v_fma_f64 v[10:11], v[10:11], v[16:17], v[10:11]
	v_div_scale_f64 v[16:17], vcc, v[30:31], v[22:23], v[30:31]
	v_mul_f64 v[18:19], v[16:17], v[10:11]
	v_fma_f64 v[2:3], -v[2:3], v[18:19], v[16:17]
	s_nop 1
	v_div_fmas_f64 v[2:3], v[2:3], v[10:11], v[18:19]
	v_div_fixup_f64 v[10:11], v[2:3], v[22:23], v[30:31]
	v_fma_f64 v[2:3], v[10:11], v[0:1], 1.0
	v_div_scale_f64 v[16:17], s[8:9], v[2:3], v[2:3], v[26:27]
	v_rcp_f64_e32 v[18:19], v[16:17]
	v_fma_f64 v[22:23], -v[16:17], v[18:19], 1.0
	v_fma_f64 v[18:19], v[18:19], v[22:23], v[18:19]
	v_fma_f64 v[22:23], -v[16:17], v[18:19], 1.0
	v_fma_f64 v[18:19], v[18:19], v[22:23], v[18:19]
	v_div_scale_f64 v[22:23], vcc, v[26:27], v[2:3], v[26:27]
	v_mul_f64 v[28:29], v[22:23], v[18:19]
	v_fma_f64 v[16:17], -v[16:17], v[28:29], v[22:23]
	s_nop 1
	v_div_fmas_f64 v[16:17], v[16:17], v[18:19], v[28:29]
	v_div_scale_f64 v[18:19], s[8:9], v[2:3], v[2:3], v[20:21]
	v_div_fixup_f64 v[16:17], v[16:17], v[2:3], v[26:27]
	v_rcp_f64_e32 v[22:23], v[18:19]
	v_fma_f64 v[26:27], -v[18:19], v[22:23], 1.0
	v_fma_f64 v[22:23], v[22:23], v[26:27], v[22:23]
	v_fma_f64 v[26:27], -v[18:19], v[22:23], 1.0
	v_fma_f64 v[22:23], v[22:23], v[26:27], v[22:23]
	v_div_scale_f64 v[26:27], vcc, v[20:21], v[2:3], v[20:21]
	v_mul_f64 v[28:29], v[26:27], v[22:23]
	v_fma_f64 v[18:19], -v[18:19], v[28:29], v[26:27]
	s_nop 1
	v_div_fmas_f64 v[18:19], v[18:19], v[22:23], v[28:29]
	v_div_fixup_f64 v[18:19], v[18:19], v[2:3], v[20:21]
	global_store_dwordx2 v[6:7], v[18:19], off
	global_store_dwordx2 v[12:13], v[16:17], off
	global_load_dwordx2 v[16:17], v[24:25], off
	s_waitcnt vmcnt(0)
	v_mul_f64 v[2:3], v[2:3], v[16:17]
	global_store_dwordx2 v[14:15], v[2:3], off
.LBB1_11:
	s_or_saveexec_b64 s[2:3], s[2:3]
	v_mov_b32_e32 v18, 0
	v_mov_b32_e32 v19, 0x3ff00000
	s_xor_b64 exec, exec, s[2:3]
	s_cbranch_execz .LBB1_13
; %bb.12:
	s_mov_b32 s8, 0
	s_mov_b32 s9, s8
	v_mov_b32_e32 v2, s8
	v_mov_b32_e32 v0, 0
	;; [unrolled: 1-line block ×8, first 2 shown]
	global_store_dwordx2 v[14:15], v[2:3], off
	global_store_dwordx2 v[6:7], v[2:3], off
	;; [unrolled: 1-line block ×3, first 2 shown]
.LBB1_13:
	s_or_b64 exec, exec, s[2:3]
                                        ; implicit-def: $vgpr30_vgpr31
                                        ; implicit-def: $vgpr22_vgpr23
                                        ; implicit-def: $vgpr28_vgpr29
                                        ; implicit-def: $vgpr20_vgpr21
.LBB1_14:
	s_or_saveexec_b64 s[0:1], s[0:1]
	v_mov_b32_e32 v16, 0
	v_mov_b32_e32 v2, 0
	;; [unrolled: 1-line block ×4, first 2 shown]
	s_xor_b64 exec, exec, s[0:1]
	s_cbranch_execz .LBB1_18
; %bb.15:
	v_div_scale_f64 v[0:1], s[2:3], v[30:31], v[30:31], -v[22:23]
	v_rcp_f64_e32 v[2:3], v[0:1]
	v_fma_f64 v[10:11], -v[0:1], v[2:3], 1.0
	v_fma_f64 v[2:3], v[2:3], v[10:11], v[2:3]
	v_fma_f64 v[10:11], -v[0:1], v[2:3], 1.0
	v_fma_f64 v[2:3], v[2:3], v[10:11], v[2:3]
	v_div_scale_f64 v[10:11], vcc, -v[22:23], v[30:31], -v[22:23]
	v_mul_f64 v[16:17], v[10:11], v[2:3]
	v_fma_f64 v[0:1], -v[0:1], v[16:17], v[10:11]
	s_nop 1
	v_div_fmas_f64 v[0:1], v[0:1], v[2:3], v[16:17]
	v_div_fixup_f64 v[2:3], v[0:1], v[30:31], -v[22:23]
	v_div_scale_f64 v[0:1], s[2:3], v[28:29], v[28:29], v[8:9]
	v_rcp_f64_e32 v[10:11], v[0:1]
	v_fma_f64 v[16:17], -v[0:1], v[10:11], 1.0
	v_fma_f64 v[10:11], v[10:11], v[16:17], v[10:11]
	v_fma_f64 v[16:17], -v[0:1], v[10:11], 1.0
	v_fma_f64 v[10:11], v[10:11], v[16:17], v[10:11]
	v_div_scale_f64 v[16:17], vcc, v[8:9], v[28:29], v[8:9]
	v_mul_f64 v[18:19], v[16:17], v[10:11]
	v_fma_f64 v[0:1], -v[0:1], v[18:19], v[16:17]
	s_nop 1
	v_div_fmas_f64 v[0:1], v[0:1], v[10:11], v[18:19]
	v_mov_b32_e32 v18, 0
	v_mov_b32_e32 v19, 0xbff00000
	v_div_fixup_f64 v[16:17], v[0:1], v[28:29], v[8:9]
	v_fma_f64 v[0:1], -v[2:3], v[16:17], 1.0
	v_cmp_lt_f64_e32 vcc, 0, v[0:1]
	s_and_saveexec_b64 s[2:3], vcc
	s_cbranch_execz .LBB1_17
; %bb.16:
	v_div_scale_f64 v[10:11], s[8:9], v[0:1], v[0:1], v[20:21]
	v_rcp_f64_e32 v[18:19], v[10:11]
	v_fma_f64 v[22:23], -v[10:11], v[18:19], 1.0
	v_fma_f64 v[18:19], v[18:19], v[22:23], v[18:19]
	v_div_scale_f64 v[22:23], vcc, v[20:21], v[0:1], v[20:21]
	v_fma_f64 v[24:25], -v[10:11], v[18:19], 1.0
	v_fma_f64 v[18:19], v[18:19], v[24:25], v[18:19]
	v_mul_f64 v[24:25], v[22:23], v[18:19]
	v_fma_f64 v[10:11], -v[10:11], v[24:25], v[22:23]
	v_div_fmas_f64 v[10:11], v[10:11], v[18:19], v[24:25]
	v_div_fixup_f64 v[10:11], v[10:11], v[0:1], v[20:21]
	global_store_dwordx2 v[12:13], v[10:11], off
	global_load_dwordx2 v[10:11], v[6:7], off
	s_waitcnt vmcnt(0)
	v_div_scale_f64 v[18:19], s[8:9], v[0:1], v[0:1], v[10:11]
	v_div_scale_f64 v[24:25], vcc, v[10:11], v[0:1], v[10:11]
	v_rcp_f64_e32 v[20:21], v[18:19]
	v_fma_f64 v[22:23], -v[18:19], v[20:21], 1.0
	v_fma_f64 v[20:21], v[20:21], v[22:23], v[20:21]
	v_fma_f64 v[22:23], -v[18:19], v[20:21], 1.0
	v_fma_f64 v[20:21], v[20:21], v[22:23], v[20:21]
	v_mul_f64 v[22:23], v[24:25], v[20:21]
	v_fma_f64 v[18:19], -v[18:19], v[22:23], v[24:25]
	v_div_fmas_f64 v[18:19], v[18:19], v[20:21], v[22:23]
	v_div_fixup_f64 v[10:11], v[18:19], v[0:1], v[10:11]
	v_mov_b32_e32 v18, 0
	v_mov_b32_e32 v19, 0
	global_store_dwordx2 v[6:7], v[10:11], off
	global_load_dwordx2 v[10:11], v[14:15], off
	s_waitcnt vmcnt(0)
	v_mul_f64 v[0:1], v[0:1], v[10:11]
	global_store_dwordx2 v[14:15], v[0:1], off
.LBB1_17:
	s_or_b64 exec, exec, s[2:3]
	v_mov_b32_e32 v10, 0
	v_mov_b32_e32 v0, 0
	v_mov_b32_e32 v11, 0
	v_mov_b32_e32 v1, 0
.LBB1_18:
	s_or_b64 exec, exec, s[0:1]
	global_load_dwordx2 v[20:21], v[12:13], off
	s_waitcnt vmcnt(0)
	v_cmp_neq_f64_e32 vcc, 0, v[20:21]
	s_and_saveexec_b64 s[8:9], vcc
	s_cbranch_execz .LBB1_26
; %bb.19:
	s_mov_b32 s12, 0
	s_mov_b32 s14, 0
	;; [unrolled: 1-line block ×4, first 2 shown]
	v_cmp_ge_f64_e64 s[0:1], s[12:13], v[20:21]
	v_cmp_le_f64_e64 s[2:3], s[14:15], v[20:21]
	v_cmp_nge_f64_e32 vcc, s[12:13], v[20:21]
	s_or_b64 s[0:1], s[0:1], s[2:3]
	s_and_saveexec_b64 s[10:11], s[0:1]
	s_cbranch_execz .LBB1_25
; %bb.20:
	v_not_b32_e32 v24, 23
	v_cndmask_b32_e32 v22, 24, v24, vcc
	v_ldexp_f64 v[20:21], v[20:21], v22
	v_mov_b32_e32 v25, 0x3f300000
	v_mov_b32_e32 v26, 0x40b00000
	;; [unrolled: 1-line block ×3, first 2 shown]
	global_store_dwordx2 v[12:13], v[20:21], off
	global_load_dwordx2 v[22:23], v[14:15], off
	v_mov_b32_e32 v20, 0
	v_cndmask_b32_e32 v21, v25, v26, vcc
	v_cmp_eq_f64_e32 vcc, 0, v[18:19]
	v_mov_b32_e32 v18, 0xbff00000
	v_cndmask_b32_e32 v17, v27, v17, vcc
	v_cndmask_b32_e32 v16, 0, v16, vcc
	;; [unrolled: 1-line block ×3, first 2 shown]
	v_cndmask_b32_e64 v0, v0, 0, vcc
	v_mul_f64 v[0:1], v[0:1], v[20:21]
	v_mul_f64 v[16:17], v[16:17], v[20:21]
	v_cndmask_b32_e32 v11, v11, v27, vcc
	v_cndmask_b32_e64 v10, v10, 0, vcc
	v_cndmask_b32_e32 v3, v18, v3, vcc
	v_cndmask_b32_e32 v2, 0, v2, vcc
	s_waitcnt vmcnt(0)
	v_mul_f64 v[22:23], v[20:21], v[22:23]
	global_store_dwordx2 v[14:15], v[22:23], off
	global_load_dwordx2 v[22:23], v[12:13], off
	s_waitcnt vmcnt(0)
	v_cmp_ge_f64_e64 s[0:1], s[12:13], v[22:23]
	v_cmp_le_f64_e64 s[2:3], s[14:15], v[22:23]
	v_cmp_nge_f64_e64 s[14:15], s[12:13], v[22:23]
	s_mov_b64 s[12:13], 0
	s_or_b64 s[2:3], s[0:1], s[2:3]
	s_and_saveexec_b64 s[0:1], s[2:3]
	s_cbranch_execz .LBB1_24
; %bb.21:
	s_mov_b32 s2, 0
	s_mov_b32 s16, 0
	;; [unrolled: 1-line block ×4, first 2 shown]
.LBB1_22:                               ; =>This Inner Loop Header: Depth=1
	v_cndmask_b32_e64 v2, 24, v24, s[14:15]
	v_ldexp_f64 v[2:3], v[22:23], v2
	v_cndmask_b32_e64 v21, v25, v26, s[14:15]
	v_mul_f64 v[0:1], v[20:21], v[0:1]
	global_store_dwordx2 v[12:13], v[2:3], off
	global_load_dwordx2 v[2:3], v[14:15], off
	s_waitcnt vmcnt(0)
	v_mul_f64 v[2:3], v[20:21], v[2:3]
	global_store_dwordx2 v[14:15], v[2:3], off
	global_load_dwordx2 v[22:23], v[12:13], off
	s_waitcnt vmcnt(0)
	v_cmp_nge_f64_e64 s[14:15], s[2:3], v[22:23]
	v_cmp_nle_f64_e32 vcc, s[16:17], v[22:23]
	s_and_b64 s[18:19], s[14:15], vcc
	s_and_b64 s[18:19], exec, s[18:19]
	s_or_b64 s[12:13], s[18:19], s[12:13]
	s_andn2_b64 exec, exec, s[12:13]
	s_cbranch_execnz .LBB1_22
; %bb.23:
	s_or_b64 exec, exec, s[12:13]
	v_mov_b32_e32 v2, 0
	v_mov_b32_e32 v16, v20
	v_mov_b32_e32 v3, 0xbff00000
	v_mov_b32_e32 v17, v21
.LBB1_24:
	s_or_b64 exec, exec, s[0:1]
	v_mov_b32_e32 v18, 0
	v_mov_b32_e32 v19, 0xbff00000
.LBB1_25:
	s_or_b64 exec, exec, s[10:11]
.LBB1_26:
	s_or_b64 exec, exec, s[8:9]
	global_load_dwordx2 v[12:13], v[6:7], off
	s_waitcnt vmcnt(0)
	v_cmp_neq_f64_e32 vcc, 0, v[12:13]
	s_and_saveexec_b64 s[8:9], vcc
	s_cbranch_execz .LBB1_34
; %bb.27:
	v_cmp_gt_f64_e32 vcc, 0, v[12:13]
	v_xor_b32_e32 v14, 0x80000000, v13
	s_mov_b32 s12, 0
	s_mov_b32 s14, 0
	;; [unrolled: 1-line block ×4, first 2 shown]
	v_cndmask_b32_e32 v15, v13, v14, vcc
	v_mov_b32_e32 v14, v12
	v_cmp_ge_f64_e64 s[0:1], s[12:13], v[14:15]
	v_cmp_le_f64_e64 s[2:3], s[14:15], v[14:15]
	v_cmp_nge_f64_e32 vcc, s[12:13], v[14:15]
	s_or_b64 s[0:1], s[0:1], s[2:3]
	s_and_saveexec_b64 s[10:11], s[0:1]
	s_cbranch_execz .LBB1_33
; %bb.28:
	v_not_b32_e32 v15, 23
	v_cmp_eq_f64_e64 s[0:1], 0, v[18:19]
	v_cndmask_b32_e32 v15, 24, v15, vcc
	v_ldexp_f64 v[12:13], v[12:13], v15
	v_mov_b32_e32 v14, 0xbff00000
	v_mov_b32_e32 v15, 0x40b00000
	;; [unrolled: 1-line block ×3, first 2 shown]
	v_cndmask_b32_e64 v3, v14, v3, s[0:1]
	v_mov_b32_e32 v14, 0x3f300000
	v_cndmask_b32_e32 v15, v14, v15, vcc
	v_cmp_gt_f64_e32 vcc, 0, v[12:13]
	v_xor_b32_e32 v18, 0x80000000, v13
	v_cndmask_b32_e64 v11, v11, v20, s[0:1]
	v_cndmask_b32_e64 v10, v10, 0, s[0:1]
	;; [unrolled: 1-line block ×3, first 2 shown]
	v_mov_b32_e32 v14, 0
	v_mul_f64 v[2:3], v[2:3], v[14:15]
	v_mul_f64 v[10:11], v[10:11], v[14:15]
	v_cndmask_b32_e32 v19, v13, v18, vcc
	v_mov_b32_e32 v18, v12
	v_cmp_ge_f64_e32 vcc, s[12:13], v[18:19]
	v_cmp_le_f64_e64 s[2:3], s[14:15], v[18:19]
	v_cndmask_b32_e64 v17, v20, v17, s[0:1]
	v_cndmask_b32_e64 v16, 0, v16, s[0:1]
	;; [unrolled: 1-line block ×4, first 2 shown]
	global_store_dwordx2 v[6:7], v[12:13], off
	s_or_b64 s[0:1], vcc, s[2:3]
	s_and_saveexec_b64 s[2:3], s[0:1]
	s_cbranch_execz .LBB1_32
; %bb.29:
	v_cmp_nge_f64_e32 vcc, s[12:13], v[18:19]
	s_mov_b32 s14, 0
	s_mov_b32 s16, 0
	s_mov_b64 s[12:13], 0
	s_mov_b32 s15, 0x3e700000
	s_mov_b32 s17, 0x41700000
	v_mov_b32_e32 v2, 0x41700000
	v_mov_b32_e32 v3, 0x3e700000
	s_and_b64 s[20:21], vcc, exec
                                        ; implicit-def: $sgpr18_sgpr19
.LBB1_30:                               ; =>This Inner Loop Header: Depth=1
	v_cndmask_b32_e64 v15, v2, v3, s[20:21]
	v_mul_f64 v[12:13], v[14:15], v[12:13]
	v_cmp_gt_f64_e32 vcc, 0, v[12:13]
	v_xor_b32_e32 v16, 0x80000000, v13
	v_mov_b32_e32 v15, v12
	v_cndmask_b32_e32 v16, v13, v16, vcc
	v_cmp_nge_f64_e32 vcc, s[14:15], v[15:16]
	v_cmp_nle_f64_e64 s[0:1], s[16:17], v[15:16]
	v_cndmask_b32_e64 v15, -12, 12, s[20:21]
	v_ldexp_f64 v[10:11], v[10:11], v15
	s_and_b64 s[0:1], vcc, s[0:1]
	s_and_b64 s[0:1], exec, s[0:1]
	s_or_b64 s[12:13], s[0:1], s[12:13]
	s_andn2_b64 s[0:1], s[20:21], exec
	s_and_b64 s[22:23], vcc, exec
	s_andn2_b64 s[18:19], s[18:19], exec
	s_and_b64 s[20:21], s[20:21], exec
	s_or_b64 s[0:1], s[0:1], s[22:23]
	s_or_b64 s[18:19], s[18:19], s[20:21]
	s_mov_b64 s[20:21], s[0:1]
	s_andn2_b64 exec, exec, s[12:13]
	s_cbranch_execnz .LBB1_30
; %bb.31:
	s_or_b64 exec, exec, s[12:13]
	v_mov_b32_e32 v2, 0xbf300000
	v_mov_b32_e32 v3, 0xc0b00000
	;; [unrolled: 1-line block ×3, first 2 shown]
	v_cndmask_b32_e64 v3, v2, v3, s[18:19]
	v_mov_b32_e32 v2, 0
	v_mov_b32_e32 v17, 0x3ff00000
	global_store_dwordx2 v[6:7], v[12:13], off
.LBB1_32:
	s_or_b64 exec, exec, s[2:3]
	v_mov_b32_e32 v18, 0
	v_mov_b32_e32 v19, 0xbff00000
.LBB1_33:
	s_or_b64 exec, exec, s[10:11]
.LBB1_34:
	s_or_b64 exec, exec, s[8:9]
.LBB1_35:
	s_or_b64 exec, exec, s[6:7]
	v_cmp_neq_f64_e32 vcc, 0, v[8:9]
                                        ; implicit-def: $vgpr14_vgpr15
                                        ; implicit-def: $vgpr6_vgpr7
                                        ; implicit-def: $vgpr12_vgpr13
	s_and_b64 s[0:1], vcc, exec
	s_andn2_saveexec_b64 s[2:3], s[4:5]
	s_cbranch_execz .LBB1_3
.LBB1_36:
	s_mov_b32 s4, 0
	s_mov_b32 s5, s4
	v_mov_b32_e32 v0, s4
	v_mov_b32_e32 v1, s5
	global_store_dwordx2 v[14:15], v[0:1], off
	global_store_dwordx2 v[6:7], v[0:1], off
	;; [unrolled: 1-line block ×3, first 2 shown]
	v_mov_b32_e32 v0, 0
	v_mov_b32_e32 v18, 0
	;; [unrolled: 1-line block ×10, first 2 shown]
	s_or_b64 s[0:1], s[0:1], exec
	s_or_b64 exec, exec, s[2:3]
	s_and_b64 exec, exec, s[0:1]
	s_cbranch_execz .LBB1_4
.LBB1_37:
	v_cmp_ngt_f64_e32 vcc, 0, v[18:19]
                                        ; implicit-def: $vgpr8_vgpr9
                                        ; implicit-def: $vgpr12_vgpr13
                                        ; implicit-def: $vgpr6_vgpr7
	s_and_saveexec_b64 s[0:1], vcc
	s_xor_b64 s[0:1], exec, s[0:1]
	s_cbranch_execz .LBB1_39
; %bb.38:
	v_cmp_eq_f64_e32 vcc, 0, v[18:19]
	v_mov_b32_e32 v7, 0
	v_mov_b32_e32 v9, v7
	v_cndmask_b32_e64 v6, 8, 16, vcc
	v_cndmask_b32_e32 v13, v1, v3, vcc
	v_cndmask_b32_e32 v12, v0, v2, vcc
	v_cndmask_b32_e64 v8, 32, 24, vcc
	v_cndmask_b32_e32 v11, v11, v17, vcc
	v_cndmask_b32_e32 v10, v10, v16, vcc
                                        ; implicit-def: $vgpr0_vgpr1
                                        ; implicit-def: $vgpr16_vgpr17
.LBB1_39:
	s_andn2_saveexec_b64 s[0:1], s[0:1]
	s_cbranch_execz .LBB1_41
; %bb.40:
	v_mov_b32_e32 v8, 32
	v_mov_b32_e32 v6, 24
	;; [unrolled: 1-line block ×6, first 2 shown]
	global_store_dwordx4 v[4:5], v[0:3], off offset:8
.LBB1_41:
	s_or_b64 exec, exec, s[0:1]
	v_add_co_u32_e32 v0, vcc, v4, v6
	v_addc_co_u32_e32 v1, vcc, v5, v7, vcc
	global_store_dwordx2 v[0:1], v[12:13], off
	v_add_co_u32_e32 v0, vcc, v4, v8
	v_addc_co_u32_e32 v1, vcc, v5, v9, vcc
	global_store_dwordx2 v[0:1], v[10:11], off
	global_store_dwordx2 v[4:5], v[18:19], off
	s_endpgm
	.section	.rodata,"a",@progbits
	.p2align	6, 0x0
	.amdhsa_kernel _ZL20rocblas_rotmg_kernelILi32EPdPKdEvT0_llS3_llS3_llT1_llS3_lli
		.amdhsa_group_segment_fixed_size 0
		.amdhsa_private_segment_fixed_size 0
		.amdhsa_kernarg_size 124
		.amdhsa_user_sgpr_count 6
		.amdhsa_user_sgpr_private_segment_buffer 1
		.amdhsa_user_sgpr_dispatch_ptr 0
		.amdhsa_user_sgpr_queue_ptr 0
		.amdhsa_user_sgpr_kernarg_segment_ptr 1
		.amdhsa_user_sgpr_dispatch_id 0
		.amdhsa_user_sgpr_flat_scratch_init 0
		.amdhsa_user_sgpr_private_segment_size 0
		.amdhsa_uses_dynamic_stack 0
		.amdhsa_system_sgpr_private_segment_wavefront_offset 0
		.amdhsa_system_sgpr_workgroup_id_x 1
		.amdhsa_system_sgpr_workgroup_id_y 0
		.amdhsa_system_sgpr_workgroup_id_z 0
		.amdhsa_system_sgpr_workgroup_info 0
		.amdhsa_system_vgpr_workitem_id 0
		.amdhsa_next_free_vgpr 32
		.amdhsa_next_free_sgpr 44
		.amdhsa_reserve_vcc 1
		.amdhsa_reserve_flat_scratch 0
		.amdhsa_float_round_mode_32 0
		.amdhsa_float_round_mode_16_64 0
		.amdhsa_float_denorm_mode_32 3
		.amdhsa_float_denorm_mode_16_64 3
		.amdhsa_dx10_clamp 1
		.amdhsa_ieee_mode 1
		.amdhsa_fp16_overflow 0
		.amdhsa_exception_fp_ieee_invalid_op 0
		.amdhsa_exception_fp_denorm_src 0
		.amdhsa_exception_fp_ieee_div_zero 0
		.amdhsa_exception_fp_ieee_overflow 0
		.amdhsa_exception_fp_ieee_underflow 0
		.amdhsa_exception_fp_ieee_inexact 0
		.amdhsa_exception_int_div_zero 0
	.end_amdhsa_kernel
	.section	.text._ZL20rocblas_rotmg_kernelILi32EPdPKdEvT0_llS3_llS3_llT1_llS3_lli,"axG",@progbits,_ZL20rocblas_rotmg_kernelILi32EPdPKdEvT0_llS3_llS3_llT1_llS3_lli,comdat
.Lfunc_end1:
	.size	_ZL20rocblas_rotmg_kernelILi32EPdPKdEvT0_llS3_llS3_llT1_llS3_lli, .Lfunc_end1-_ZL20rocblas_rotmg_kernelILi32EPdPKdEvT0_llS3_llS3_llT1_llS3_lli
                                        ; -- End function
	.set _ZL20rocblas_rotmg_kernelILi32EPdPKdEvT0_llS3_llS3_llT1_llS3_lli.num_vgpr, 32
	.set _ZL20rocblas_rotmg_kernelILi32EPdPKdEvT0_llS3_llS3_llT1_llS3_lli.num_agpr, 0
	.set _ZL20rocblas_rotmg_kernelILi32EPdPKdEvT0_llS3_llS3_llT1_llS3_lli.numbered_sgpr, 44
	.set _ZL20rocblas_rotmg_kernelILi32EPdPKdEvT0_llS3_llS3_llT1_llS3_lli.num_named_barrier, 0
	.set _ZL20rocblas_rotmg_kernelILi32EPdPKdEvT0_llS3_llS3_llT1_llS3_lli.private_seg_size, 0
	.set _ZL20rocblas_rotmg_kernelILi32EPdPKdEvT0_llS3_llS3_llT1_llS3_lli.uses_vcc, 1
	.set _ZL20rocblas_rotmg_kernelILi32EPdPKdEvT0_llS3_llS3_llT1_llS3_lli.uses_flat_scratch, 0
	.set _ZL20rocblas_rotmg_kernelILi32EPdPKdEvT0_llS3_llS3_llT1_llS3_lli.has_dyn_sized_stack, 0
	.set _ZL20rocblas_rotmg_kernelILi32EPdPKdEvT0_llS3_llS3_llT1_llS3_lli.has_recursion, 0
	.set _ZL20rocblas_rotmg_kernelILi32EPdPKdEvT0_llS3_llS3_llT1_llS3_lli.has_indirect_call, 0
	.section	.AMDGPU.csdata,"",@progbits
; Kernel info:
; codeLenInByte = 2860
; TotalNumSgprs: 48
; NumVgprs: 32
; ScratchSize: 0
; MemoryBound: 0
; FloatMode: 240
; IeeeMode: 1
; LDSByteSize: 0 bytes/workgroup (compile time only)
; SGPRBlocks: 5
; VGPRBlocks: 7
; NumSGPRsForWavesPerEU: 48
; NumVGPRsForWavesPerEU: 32
; Occupancy: 8
; WaveLimiterHint : 0
; COMPUTE_PGM_RSRC2:SCRATCH_EN: 0
; COMPUTE_PGM_RSRC2:USER_SGPR: 6
; COMPUTE_PGM_RSRC2:TRAP_HANDLER: 0
; COMPUTE_PGM_RSRC2:TGID_X_EN: 1
; COMPUTE_PGM_RSRC2:TGID_Y_EN: 0
; COMPUTE_PGM_RSRC2:TGID_Z_EN: 0
; COMPUTE_PGM_RSRC2:TIDIG_COMP_CNT: 0
	.section	.text._ZL20rocblas_rotmg_kernelILi32EPKPfPKPKfEvT0_llS7_llS7_llT1_llS7_lli,"axG",@progbits,_ZL20rocblas_rotmg_kernelILi32EPKPfPKPKfEvT0_llS7_llS7_llT1_llS7_lli,comdat
	.globl	_ZL20rocblas_rotmg_kernelILi32EPKPfPKPKfEvT0_llS7_llS7_llT1_llS7_lli ; -- Begin function _ZL20rocblas_rotmg_kernelILi32EPKPfPKPKfEvT0_llS7_llS7_llT1_llS7_lli
	.p2align	8
	.type	_ZL20rocblas_rotmg_kernelILi32EPKPfPKPKfEvT0_llS7_llS7_llT1_llS7_lli,@function
_ZL20rocblas_rotmg_kernelILi32EPKPfPKPKfEvT0_llS7_llS7_llT1_llS7_lli: ; @_ZL20rocblas_rotmg_kernelILi32EPKPfPKPKfEvT0_llS7_llS7_llT1_llS7_lli
; %bb.0:
	s_load_dword s0, s[4:5], 0x78
	v_lshl_or_b32 v0, s6, 5, v0
	s_waitcnt lgkmcnt(0)
	v_cmp_gt_i32_e32 vcc, s0, v0
	s_and_saveexec_b64 s[0:1], vcc
	s_cbranch_execz .LBB2_4
; %bb.1:
	s_load_dwordx4 s[16:19], s[4:5], 0x0
	s_load_dwordx4 s[0:3], s[4:5], 0x18
	v_mov_b32_e32 v1, 0
	v_lshlrev_b64 v[10:11], 3, v[0:1]
                                        ; implicit-def: $vgpr15
	s_waitcnt lgkmcnt(0)
	v_mov_b32_e32 v1, s17
	v_add_co_u32_e32 v0, vcc, s16, v10
	v_addc_co_u32_e32 v1, vcc, v1, v11, vcc
	global_load_dwordx2 v[0:1], v[0:1], off
	s_load_dwordx4 s[8:11], s[4:5], 0x30
	s_load_dwordx4 s[12:15], s[4:5], 0x60
	v_mov_b32_e32 v3, s1
	v_add_co_u32_e32 v2, vcc, s0, v10
	v_addc_co_u32_e32 v3, vcc, v3, v11, vcc
	s_waitcnt lgkmcnt(0)
	v_mov_b32_e32 v5, s9
	v_add_co_u32_e32 v4, vcc, s8, v10
	v_addc_co_u32_e32 v5, vcc, v5, v11, vcc
	global_load_dwordx2 v[8:9], v[2:3], off
	global_load_dwordx2 v[12:13], v[4:5], off
	v_mov_b32_e32 v6, s13
	v_add_co_u32_e32 v2, vcc, s12, v10
	s_lshl_b64 s[6:7], s[18:19], 2
	v_addc_co_u32_e32 v3, vcc, v6, v11, vcc
	v_mov_b32_e32 v7, s7
	global_load_dwordx2 v[4:5], v[2:3], off
	s_lshl_b64 s[0:1], s[2:3], 2
	s_lshl_b64 s[2:3], s[10:11], 2
	s_waitcnt vmcnt(3)
	v_add_co_u32_e32 v6, vcc, s6, v0
	v_addc_co_u32_e32 v7, vcc, v1, v7, vcc
	flat_load_dword v16, v[6:7]
	v_mov_b32_e32 v0, s1
	v_mov_b32_e32 v1, s3
	s_lshl_b64 s[6:7], s[14:15], 2
	v_mov_b32_e32 v14, s7
	s_waitcnt vmcnt(0)
	v_add_co_u32_e32 v2, vcc, s0, v8
	v_addc_co_u32_e32 v3, vcc, v9, v0, vcc
	v_add_co_u32_e32 v8, vcc, s2, v12
	v_addc_co_u32_e32 v9, vcc, v13, v1, vcc
	s_mov_b64 s[0:1], 0
	v_add_co_u32_e32 v0, vcc, s6, v4
	v_addc_co_u32_e32 v1, vcc, v5, v14, vcc
                                        ; implicit-def: $vgpr4
                                        ; implicit-def: $vgpr14
                                        ; implicit-def: $vgpr13
	s_waitcnt lgkmcnt(0)
	v_cmp_ngt_f32_e32 vcc, 0, v16
	s_and_saveexec_b64 s[2:3], vcc
	s_xor_b64 s[6:7], exec, s[2:3]
	s_cbranch_execnz .LBB2_5
; %bb.2:
	s_andn2_saveexec_b64 s[2:3], s[6:7]
	s_cbranch_execnz .LBB2_36
.LBB2_3:
	s_or_b64 exec, exec, s[2:3]
	s_and_b64 exec, exec, s[0:1]
	s_cbranch_execnz .LBB2_37
.LBB2_4:
	s_endpgm
.LBB2_5:
	s_load_dwordx4 s[0:3], s[4:5], 0x48
	s_waitcnt lgkmcnt(0)
	v_mov_b32_e32 v5, s1
	v_add_co_u32_e32 v4, vcc, s0, v10
	v_addc_co_u32_e32 v5, vcc, v5, v11, vcc
	global_load_dwordx2 v[4:5], v[4:5], off
	s_lshl_b64 s[0:1], s[2:3], 2
	v_mov_b32_e32 v11, s1
	s_waitcnt vmcnt(0)
	v_add_co_u32_e32 v10, vcc, s0, v4
	v_addc_co_u32_e32 v11, vcc, v5, v11, vcc
	flat_load_dword v18, v[2:3]
	flat_load_dword v17, v[10:11]
	s_waitcnt vmcnt(0) lgkmcnt(0)
	v_mul_f32_e32 v12, v18, v17
	v_cmp_eq_f32_e32 vcc, 0, v12
	s_and_saveexec_b64 s[0:1], vcc
	s_xor_b64 s[0:1], exec, s[0:1]
	s_cbranch_execz .LBB2_7
; %bb.6:
	v_mov_b32_e32 v2, -2.0
	flat_store_dword v[0:1], v2
                                        ; implicit-def: $vgpr2_vgpr3
                                        ; implicit-def: $vgpr6_vgpr7
                                        ; implicit-def: $vgpr8_vgpr9
                                        ; implicit-def: $vgpr16
                                        ; implicit-def: $vgpr17
                                        ; implicit-def: $vgpr18
                                        ; implicit-def: $vgpr10_vgpr11
.LBB2_7:
	s_or_saveexec_b64 s[4:5], s[0:1]
	v_mov_b32_e32 v4, 0
	v_mov_b32_e32 v15, -2.0
	v_mov_b32_e32 v5, 0
	v_mov_b32_e32 v14, 0
	;; [unrolled: 1-line block ×3, first 2 shown]
	s_xor_b64 exec, exec, s[4:5]
	s_cbranch_execz .LBB2_35
; %bb.8:
	flat_load_dword v19, v[8:9]
	v_mul_f32_e32 v5, v17, v12
                                        ; implicit-def: $vgpr15
                                        ; implicit-def: $vgpr13
	s_waitcnt vmcnt(0) lgkmcnt(0)
	v_mul_f32_e32 v20, v16, v19
	v_mul_f32_e32 v4, v19, v20
	v_cmp_ngt_f32_e64 s[0:1], |v4|, |v5|
                                        ; implicit-def: $vgpr4
	s_and_saveexec_b64 s[2:3], s[0:1]
	s_xor_b64 s[0:1], exec, s[2:3]
	s_cbranch_execz .LBB2_14
; %bb.9:
	v_cmp_ngt_f32_e32 vcc, 0, v5
                                        ; implicit-def: $vgpr4
                                        ; implicit-def: $vgpr13
	s_and_saveexec_b64 s[2:3], vcc
	s_xor_b64 s[2:3], exec, s[2:3]
	s_cbranch_execz .LBB2_11
; %bb.10:
	v_div_scale_f32 v4, s[8:9], v12, v12, v20
	v_rcp_f32_e32 v5, v4
	v_fma_f32 v13, -v4, v5, 1.0
	v_fmac_f32_e32 v5, v13, v5
	v_div_scale_f32 v13, vcc, v20, v12, v20
	v_mul_f32_e32 v14, v13, v5
	v_fma_f32 v15, -v4, v14, v13
	v_fmac_f32_e32 v14, v15, v5
	v_fma_f32 v4, -v4, v14, v13
	v_div_fmas_f32 v4, v4, v5, v14
	v_div_scale_f32 v5, s[8:9], v17, v17, v19
	v_div_fixup_f32 v4, v4, v12, v20
	v_rcp_f32_e32 v13, v5
	v_fma_f32 v14, -v5, v13, 1.0
	v_fmac_f32_e32 v13, v14, v13
	v_div_scale_f32 v14, vcc, v19, v17, v19
	v_mul_f32_e32 v15, v14, v13
	v_fma_f32 v21, -v5, v15, v14
	v_fmac_f32_e32 v15, v21, v13
	v_fma_f32 v5, -v5, v15, v14
	v_div_fmas_f32 v5, v5, v13, v15
	v_div_fixup_f32 v13, v5, v17, v19
	v_fma_f32 v5, v13, v4, 1.0
	v_div_scale_f32 v14, s[8:9], v5, v5, v18
	v_rcp_f32_e32 v15, v14
	v_fma_f32 v17, -v14, v15, 1.0
	v_fmac_f32_e32 v15, v17, v15
	v_div_scale_f32 v17, vcc, v18, v5, v18
	v_mul_f32_e32 v19, v17, v15
	v_fma_f32 v20, -v14, v19, v17
	v_fmac_f32_e32 v19, v20, v15
	v_fma_f32 v14, -v14, v19, v17
	v_div_fmas_f32 v14, v14, v15, v19
	v_div_scale_f32 v15, s[8:9], v5, v5, v16
	v_div_fixup_f32 v14, v14, v5, v18
	v_rcp_f32_e32 v17, v15
	v_fma_f32 v19, -v15, v17, 1.0
	v_fmac_f32_e32 v17, v19, v17
	v_div_scale_f32 v19, vcc, v16, v5, v16
	v_mul_f32_e32 v20, v19, v17
	v_fma_f32 v21, -v15, v20, v19
	v_fmac_f32_e32 v20, v21, v17
	v_fma_f32 v15, -v15, v20, v19
	v_div_fmas_f32 v15, v15, v17, v20
	v_div_fixup_f32 v15, v15, v5, v16
	flat_store_dword v[2:3], v15
	flat_store_dword v[6:7], v14
	flat_load_dword v10, v[10:11]
	s_waitcnt vmcnt(0) lgkmcnt(0)
	v_mul_f32_e32 v5, v5, v10
	flat_store_dword v[8:9], v5
.LBB2_11:
	s_or_saveexec_b64 s[2:3], s[2:3]
	v_mov_b32_e32 v15, 1.0
	s_xor_b64 exec, exec, s[2:3]
	s_cbranch_execz .LBB2_13
; %bb.12:
	v_mov_b32_e32 v4, 0
	v_mov_b32_e32 v15, -1.0
	v_mov_b32_e32 v13, 0
	flat_store_dword v[8:9], v4
	flat_store_dword v[2:3], v4
	;; [unrolled: 1-line block ×3, first 2 shown]
.LBB2_13:
	s_or_b64 exec, exec, s[2:3]
                                        ; implicit-def: $vgpr19
                                        ; implicit-def: $vgpr17
                                        ; implicit-def: $vgpr20
                                        ; implicit-def: $vgpr16
.LBB2_14:
	s_or_saveexec_b64 s[2:3], s[0:1]
	v_mov_b32_e32 v14, 0
	v_mov_b32_e32 v5, 0
	s_xor_b64 exec, exec, s[2:3]
	s_cbranch_execz .LBB2_18
; %bb.15:
	v_div_scale_f32 v4, s[0:1], v19, v19, -v17
	v_div_scale_f32 v5, s[0:1], v20, v20, v12
	v_div_scale_f32 v10, vcc, -v17, v19, -v17
	v_div_scale_f32 v11, s[0:1], v12, v20, v12
	v_rcp_f32_e32 v13, v4
	v_rcp_f32_e32 v14, v5
	v_fma_f32 v15, -v4, v13, 1.0
	v_fmac_f32_e32 v13, v15, v13
	v_fma_f32 v18, -v5, v14, 1.0
	v_fmac_f32_e32 v14, v18, v14
	v_mul_f32_e32 v15, v10, v13
	v_mul_f32_e32 v18, v11, v14
	v_fma_f32 v21, -v4, v15, v10
	v_fma_f32 v22, -v5, v18, v11
	v_fmac_f32_e32 v15, v21, v13
	v_fmac_f32_e32 v18, v22, v14
	v_fma_f32 v4, -v4, v15, v10
	v_fma_f32 v5, -v5, v18, v11
	v_div_fmas_f32 v4, v4, v13, v15
	s_mov_b64 vcc, s[0:1]
	v_div_fmas_f32 v10, v5, v14, v18
	v_mov_b32_e32 v15, -1.0
	v_div_fixup_f32 v5, v4, v19, -v17
	v_div_fixup_f32 v14, v10, v20, v12
	v_fma_f32 v4, -v5, v14, 1.0
	v_cmp_lt_f32_e32 vcc, 0, v4
	s_and_saveexec_b64 s[0:1], vcc
	s_cbranch_execz .LBB2_17
; %bb.16:
	v_div_scale_f32 v10, s[8:9], v4, v4, v16
	v_div_scale_f32 v11, vcc, v16, v4, v16
	v_rcp_f32_e32 v13, v10
	v_fma_f32 v15, -v10, v13, 1.0
	v_fmac_f32_e32 v13, v15, v13
	v_mul_f32_e32 v15, v11, v13
	v_fma_f32 v17, -v10, v15, v11
	v_fmac_f32_e32 v15, v17, v13
	v_fma_f32 v10, -v10, v15, v11
	v_div_fmas_f32 v10, v10, v13, v15
	v_div_fixup_f32 v10, v10, v4, v16
	flat_store_dword v[6:7], v10
	flat_load_dword v10, v[2:3]
	s_waitcnt vmcnt(0) lgkmcnt(0)
	v_div_scale_f32 v11, s[8:9], v4, v4, v10
	v_div_scale_f32 v13, vcc, v10, v4, v10
	v_rcp_f32_e32 v15, v11
	v_fma_f32 v16, -v11, v15, 1.0
	v_fmac_f32_e32 v15, v16, v15
	v_mul_f32_e32 v16, v13, v15
	v_fma_f32 v17, -v11, v16, v13
	v_fmac_f32_e32 v16, v17, v15
	v_fma_f32 v11, -v11, v16, v13
	v_div_fmas_f32 v11, v11, v15, v16
	v_mov_b32_e32 v15, 0
	v_div_fixup_f32 v10, v11, v4, v10
	flat_store_dword v[2:3], v10
	flat_load_dword v10, v[8:9]
	s_waitcnt vmcnt(0) lgkmcnt(0)
	v_mul_f32_e32 v4, v4, v10
	flat_store_dword v[8:9], v4
.LBB2_17:
	s_or_b64 exec, exec, s[0:1]
	v_mov_b32_e32 v13, 0
	v_mov_b32_e32 v4, 0
.LBB2_18:
	s_or_b64 exec, exec, s[2:3]
	flat_load_dword v11, v[6:7]
	s_waitcnt vmcnt(0) lgkmcnt(0)
	v_cmp_neq_f32_e32 vcc, 0, v11
	s_and_saveexec_b64 s[8:9], vcc
	s_cbranch_execz .LBB2_26
; %bb.19:
	s_mov_b32 s14, 0x33800000
	s_mov_b32 s15, 0x4b800000
	v_cmp_ge_f32_e64 s[0:1], s14, v11
	v_cmp_le_f32_e64 s[2:3], s15, v11
	v_cmp_nge_f32_e32 vcc, s14, v11
	s_or_b64 s[0:1], s[0:1], s[2:3]
	s_and_saveexec_b64 s[10:11], s[0:1]
	s_cbranch_execz .LBB2_25
; %bb.20:
	v_not_b32_e32 v10, 23
	v_cndmask_b32_e32 v16, 24, v10, vcc
	v_ldexp_f32 v11, v11, v16
	flat_store_dword v[6:7], v11
	flat_load_dword v17, v[8:9]
	v_mov_b32_e32 v11, 0x39800000
	v_mov_b32_e32 v16, 0x45800000
	v_cndmask_b32_e32 v18, v11, v16, vcc
	v_cmp_eq_f32_e32 vcc, 0, v15
	v_cndmask_b32_e32 v14, 1.0, v14, vcc
	v_cndmask_b32_e64 v4, v4, 1.0, vcc
	v_cndmask_b32_e32 v5, -1.0, v5, vcc
	v_mul_f32_e32 v4, v4, v18
	v_mul_f32_e32 v14, v14, v18
	s_waitcnt vmcnt(0) lgkmcnt(0)
	v_mul_f32_e32 v17, v18, v17
	flat_store_dword v[8:9], v17
	flat_load_dword v17, v[6:7]
	s_waitcnt vmcnt(0) lgkmcnt(0)
	v_cmp_ge_f32_e64 s[0:1], s14, v17
	v_cmp_le_f32_e64 s[2:3], s15, v17
	v_cmp_nge_f32_e64 s[12:13], s14, v17
	s_or_b64 s[0:1], s[0:1], s[2:3]
	s_and_saveexec_b64 s[2:3], s[0:1]
	s_cbranch_execz .LBB2_24
; %bb.21:
	s_mov_b64 s[14:15], 0
	s_mov_b32 s16, 0x33800000
	s_mov_b32 s17, 0x4b800000
.LBB2_22:                               ; =>This Inner Loop Header: Depth=1
	v_cndmask_b32_e64 v5, 24, v10, s[12:13]
	v_ldexp_f32 v5, v17, v5
	flat_store_dword v[6:7], v5
	flat_load_dword v5, v[8:9]
	v_cndmask_b32_e64 v14, v11, v16, s[12:13]
	v_mul_f32_e32 v4, v14, v4
	s_waitcnt vmcnt(0) lgkmcnt(0)
	v_mul_f32_e32 v5, v14, v5
	flat_store_dword v[8:9], v5
	flat_load_dword v17, v[6:7]
	s_waitcnt vmcnt(0) lgkmcnt(0)
	v_cmp_nge_f32_e64 s[12:13], s16, v17
	v_cmp_nle_f32_e64 s[0:1], s17, v17
	s_and_b64 s[0:1], s[12:13], s[0:1]
	s_and_b64 s[0:1], exec, s[0:1]
	s_or_b64 s[14:15], s[0:1], s[14:15]
	s_andn2_b64 exec, exec, s[14:15]
	s_cbranch_execnz .LBB2_22
; %bb.23:
	s_or_b64 exec, exec, s[14:15]
	v_mov_b32_e32 v5, -1.0
.LBB2_24:
	s_or_b64 exec, exec, s[2:3]
	v_cndmask_b32_e64 v13, v13, 1.0, vcc
	v_mov_b32_e32 v15, -1.0
.LBB2_25:
	s_or_b64 exec, exec, s[10:11]
.LBB2_26:
	s_or_b64 exec, exec, s[8:9]
	flat_load_dword v6, v[2:3]
	s_waitcnt vmcnt(0) lgkmcnt(0)
	v_cmp_neq_f32_e32 vcc, 0, v6
	s_and_saveexec_b64 s[8:9], vcc
	s_cbranch_execz .LBB2_34
; %bb.27:
	v_cmp_gt_f32_e32 vcc, 0, v6
	v_cndmask_b32_e64 v7, v6, -v6, vcc
	s_mov_b32 s14, 0x33800000
	s_mov_b32 s12, 0x4b800000
	v_cmp_ge_f32_e32 vcc, s14, v7
	v_cmp_le_f32_e64 s[2:3], s12, v7
	v_cmp_nge_f32_e64 s[0:1], s14, v7
	s_or_b64 s[2:3], vcc, s[2:3]
	s_and_saveexec_b64 s[10:11], s[2:3]
	s_cbranch_execz .LBB2_33
; %bb.28:
	v_mov_b32_e32 v8, 0x39800000
	v_mov_b32_e32 v9, 0x45800000
	v_cndmask_b32_e64 v8, v8, v9, s[0:1]
	v_not_b32_e32 v9, 23
	v_cndmask_b32_e64 v9, 24, v9, s[0:1]
	v_cmp_eq_f32_e32 vcc, 0, v15
	v_ldexp_f32 v6, v6, v9
	v_cndmask_b32_e64 v7, v13, 1.0, vcc
	v_cmp_gt_f32_e64 s[0:1], 0, v6
	v_mul_f32_e32 v13, v7, v8
	v_cndmask_b32_e64 v7, v6, -v6, s[0:1]
	v_cndmask_b32_e32 v5, -1.0, v5, vcc
	v_cmp_ge_f32_e64 s[0:1], s14, v7
	v_cmp_le_f32_e64 s[2:3], s12, v7
	v_cndmask_b32_e32 v14, 1.0, v14, vcc
	v_mul_f32_e32 v5, v5, v8
	s_or_b64 s[0:1], s[0:1], s[2:3]
	flat_store_dword v[2:3], v6
	s_and_saveexec_b64 s[12:13], s[0:1]
	s_cbranch_execz .LBB2_32
; %bb.29:
	v_cmp_nge_f32_e64 s[0:1], s14, v7
	s_mov_b64 s[14:15], 0
	s_and_b64 s[16:17], s[0:1], exec
	s_mov_b32 s20, 0x33800000
	s_mov_b32 s21, 0x4b800000
	v_mov_b32_e32 v5, 0x4b800000
	v_mov_b32_e32 v7, 0x33800000
                                        ; implicit-def: $sgpr18_sgpr19
.LBB2_30:                               ; =>This Inner Loop Header: Depth=1
	v_cndmask_b32_e64 v8, v5, v7, s[16:17]
	v_mul_f32_e32 v6, v8, v6
	v_cndmask_b32_e64 v8, -12, 12, s[16:17]
	v_cmp_gt_f32_e64 s[0:1], 0, v6
	v_ldexp_f32 v13, v13, v8
	v_cndmask_b32_e64 v8, v6, -v6, s[0:1]
	v_cmp_nge_f32_e64 s[0:1], s20, v8
	v_cmp_nle_f32_e64 s[2:3], s21, v8
	s_and_b64 s[2:3], s[0:1], s[2:3]
	s_and_b64 s[2:3], exec, s[2:3]
	s_or_b64 s[14:15], s[2:3], s[14:15]
	s_andn2_b64 s[2:3], s[16:17], exec
	s_and_b64 s[0:1], s[0:1], exec
	s_or_b64 s[0:1], s[2:3], s[0:1]
	s_andn2_b64 s[2:3], s[18:19], exec
	s_and_b64 s[16:17], s[16:17], exec
	s_or_b64 s[18:19], s[2:3], s[16:17]
	s_mov_b64 s[16:17], s[0:1]
	s_andn2_b64 exec, exec, s[14:15]
	s_cbranch_execnz .LBB2_30
; %bb.31:
	s_or_b64 exec, exec, s[14:15]
	v_mov_b32_e32 v5, 0xb9800000
	v_mov_b32_e32 v7, 0xc5800000
	v_cndmask_b32_e64 v5, v5, v7, s[18:19]
	v_mov_b32_e32 v14, 1.0
	flat_store_dword v[2:3], v6
.LBB2_32:
	s_or_b64 exec, exec, s[12:13]
	v_cndmask_b32_e64 v4, v4, 1.0, vcc
	v_mov_b32_e32 v15, -1.0
.LBB2_33:
	s_or_b64 exec, exec, s[10:11]
.LBB2_34:
	s_or_b64 exec, exec, s[8:9]
.LBB2_35:
	s_or_b64 exec, exec, s[4:5]
	v_cmp_neq_f32_e32 vcc, 0, v12
	s_and_b64 s[0:1], vcc, exec
                                        ; implicit-def: $vgpr8_vgpr9
                                        ; implicit-def: $vgpr2_vgpr3
                                        ; implicit-def: $vgpr6_vgpr7
	s_andn2_saveexec_b64 s[2:3], s[6:7]
	s_cbranch_execz .LBB2_3
.LBB2_36:
	v_mov_b32_e32 v4, 0
	v_mov_b32_e32 v15, -1.0
	s_or_b64 s[0:1], s[0:1], exec
	v_mov_b32_e32 v5, 0
	v_mov_b32_e32 v14, 0
	;; [unrolled: 1-line block ×3, first 2 shown]
	flat_store_dword v[8:9], v4
	flat_store_dword v[2:3], v4
	;; [unrolled: 1-line block ×3, first 2 shown]
	s_or_b64 exec, exec, s[2:3]
	s_and_b64 exec, exec, s[0:1]
	s_cbranch_execz .LBB2_4
.LBB2_37:
	v_cmp_ngt_f32_e32 vcc, 0, v15
                                        ; implicit-def: $vgpr2_vgpr3
                                        ; implicit-def: $vgpr8
                                        ; implicit-def: $vgpr6_vgpr7
	s_and_saveexec_b64 s[0:1], vcc
	s_xor_b64 s[0:1], exec, s[0:1]
; %bb.38:
	v_cmp_eq_f32_e32 vcc, 0, v15
	v_mov_b32_e32 v7, 0
	v_cndmask_b32_e64 v6, 4, 8, vcc
	v_cndmask_b32_e32 v8, v4, v5, vcc
	v_cndmask_b32_e64 v2, 16, 12, vcc
	v_mov_b32_e32 v3, v7
	v_cndmask_b32_e32 v13, v13, v14, vcc
                                        ; implicit-def: $vgpr4
                                        ; implicit-def: $vgpr14
; %bb.39:
	s_andn2_saveexec_b64 s[0:1], s[0:1]
	s_cbranch_execz .LBB2_41
; %bb.40:
	v_mov_b32_e32 v2, 16
	v_mov_b32_e32 v6, 12
	;; [unrolled: 1-line block ×5, first 2 shown]
	flat_store_dwordx2 v[0:1], v[4:5] offset:4
.LBB2_41:
	s_or_b64 exec, exec, s[0:1]
	v_add_co_u32_e32 v4, vcc, v0, v6
	v_addc_co_u32_e32 v5, vcc, v1, v7, vcc
	v_add_co_u32_e32 v2, vcc, v0, v2
	v_addc_co_u32_e32 v3, vcc, v1, v3, vcc
	flat_store_dword v[4:5], v8
	flat_store_dword v[2:3], v13
	;; [unrolled: 1-line block ×3, first 2 shown]
	s_endpgm
	.section	.rodata,"a",@progbits
	.p2align	6, 0x0
	.amdhsa_kernel _ZL20rocblas_rotmg_kernelILi32EPKPfPKPKfEvT0_llS7_llS7_llT1_llS7_lli
		.amdhsa_group_segment_fixed_size 0
		.amdhsa_private_segment_fixed_size 0
		.amdhsa_kernarg_size 124
		.amdhsa_user_sgpr_count 6
		.amdhsa_user_sgpr_private_segment_buffer 1
		.amdhsa_user_sgpr_dispatch_ptr 0
		.amdhsa_user_sgpr_queue_ptr 0
		.amdhsa_user_sgpr_kernarg_segment_ptr 1
		.amdhsa_user_sgpr_dispatch_id 0
		.amdhsa_user_sgpr_flat_scratch_init 0
		.amdhsa_user_sgpr_private_segment_size 0
		.amdhsa_uses_dynamic_stack 0
		.amdhsa_system_sgpr_private_segment_wavefront_offset 0
		.amdhsa_system_sgpr_workgroup_id_x 1
		.amdhsa_system_sgpr_workgroup_id_y 0
		.amdhsa_system_sgpr_workgroup_id_z 0
		.amdhsa_system_sgpr_workgroup_info 0
		.amdhsa_system_vgpr_workitem_id 0
		.amdhsa_next_free_vgpr 23
		.amdhsa_next_free_sgpr 22
		.amdhsa_reserve_vcc 1
		.amdhsa_reserve_flat_scratch 0
		.amdhsa_float_round_mode_32 0
		.amdhsa_float_round_mode_16_64 0
		.amdhsa_float_denorm_mode_32 3
		.amdhsa_float_denorm_mode_16_64 3
		.amdhsa_dx10_clamp 1
		.amdhsa_ieee_mode 1
		.amdhsa_fp16_overflow 0
		.amdhsa_exception_fp_ieee_invalid_op 0
		.amdhsa_exception_fp_denorm_src 0
		.amdhsa_exception_fp_ieee_div_zero 0
		.amdhsa_exception_fp_ieee_overflow 0
		.amdhsa_exception_fp_ieee_underflow 0
		.amdhsa_exception_fp_ieee_inexact 0
		.amdhsa_exception_int_div_zero 0
	.end_amdhsa_kernel
	.section	.text._ZL20rocblas_rotmg_kernelILi32EPKPfPKPKfEvT0_llS7_llS7_llT1_llS7_lli,"axG",@progbits,_ZL20rocblas_rotmg_kernelILi32EPKPfPKPKfEvT0_llS7_llS7_llT1_llS7_lli,comdat
.Lfunc_end2:
	.size	_ZL20rocblas_rotmg_kernelILi32EPKPfPKPKfEvT0_llS7_llS7_llT1_llS7_lli, .Lfunc_end2-_ZL20rocblas_rotmg_kernelILi32EPKPfPKPKfEvT0_llS7_llS7_llT1_llS7_lli
                                        ; -- End function
	.set _ZL20rocblas_rotmg_kernelILi32EPKPfPKPKfEvT0_llS7_llS7_llT1_llS7_lli.num_vgpr, 23
	.set _ZL20rocblas_rotmg_kernelILi32EPKPfPKPKfEvT0_llS7_llS7_llT1_llS7_lli.num_agpr, 0
	.set _ZL20rocblas_rotmg_kernelILi32EPKPfPKPKfEvT0_llS7_llS7_llT1_llS7_lli.numbered_sgpr, 22
	.set _ZL20rocblas_rotmg_kernelILi32EPKPfPKPKfEvT0_llS7_llS7_llT1_llS7_lli.num_named_barrier, 0
	.set _ZL20rocblas_rotmg_kernelILi32EPKPfPKPKfEvT0_llS7_llS7_llT1_llS7_lli.private_seg_size, 0
	.set _ZL20rocblas_rotmg_kernelILi32EPKPfPKPKfEvT0_llS7_llS7_llT1_llS7_lli.uses_vcc, 1
	.set _ZL20rocblas_rotmg_kernelILi32EPKPfPKPKfEvT0_llS7_llS7_llT1_llS7_lli.uses_flat_scratch, 0
	.set _ZL20rocblas_rotmg_kernelILi32EPKPfPKPKfEvT0_llS7_llS7_llT1_llS7_lli.has_dyn_sized_stack, 0
	.set _ZL20rocblas_rotmg_kernelILi32EPKPfPKPKfEvT0_llS7_llS7_llT1_llS7_lli.has_recursion, 0
	.set _ZL20rocblas_rotmg_kernelILi32EPKPfPKPKfEvT0_llS7_llS7_llT1_llS7_lli.has_indirect_call, 0
	.section	.AMDGPU.csdata,"",@progbits
; Kernel info:
; codeLenInByte = 2304
; TotalNumSgprs: 26
; NumVgprs: 23
; ScratchSize: 0
; MemoryBound: 0
; FloatMode: 240
; IeeeMode: 1
; LDSByteSize: 0 bytes/workgroup (compile time only)
; SGPRBlocks: 3
; VGPRBlocks: 5
; NumSGPRsForWavesPerEU: 26
; NumVGPRsForWavesPerEU: 23
; Occupancy: 10
; WaveLimiterHint : 1
; COMPUTE_PGM_RSRC2:SCRATCH_EN: 0
; COMPUTE_PGM_RSRC2:USER_SGPR: 6
; COMPUTE_PGM_RSRC2:TRAP_HANDLER: 0
; COMPUTE_PGM_RSRC2:TGID_X_EN: 1
; COMPUTE_PGM_RSRC2:TGID_Y_EN: 0
; COMPUTE_PGM_RSRC2:TGID_Z_EN: 0
; COMPUTE_PGM_RSRC2:TIDIG_COMP_CNT: 0
	.section	.text._ZL20rocblas_rotmg_kernelILi32EPKPdPKPKdEvT0_llS7_llS7_llT1_llS7_lli,"axG",@progbits,_ZL20rocblas_rotmg_kernelILi32EPKPdPKPKdEvT0_llS7_llS7_llT1_llS7_lli,comdat
	.globl	_ZL20rocblas_rotmg_kernelILi32EPKPdPKPKdEvT0_llS7_llS7_llT1_llS7_lli ; -- Begin function _ZL20rocblas_rotmg_kernelILi32EPKPdPKPKdEvT0_llS7_llS7_llT1_llS7_lli
	.p2align	8
	.type	_ZL20rocblas_rotmg_kernelILi32EPKPdPKPKdEvT0_llS7_llS7_llT1_llS7_lli,@function
_ZL20rocblas_rotmg_kernelILi32EPKPdPKPKdEvT0_llS7_llS7_llT1_llS7_lli: ; @_ZL20rocblas_rotmg_kernelILi32EPKPdPKPKdEvT0_llS7_llS7_llT1_llS7_lli
; %bb.0:
	s_load_dword s0, s[4:5], 0x78
	v_lshl_or_b32 v0, s6, 5, v0
	s_waitcnt lgkmcnt(0)
	v_cmp_gt_i32_e32 vcc, s0, v0
	s_and_saveexec_b64 s[0:1], vcc
	s_cbranch_execz .LBB3_4
; %bb.1:
	s_load_dwordx4 s[16:19], s[4:5], 0x0
	s_load_dwordx4 s[0:3], s[4:5], 0x18
	v_mov_b32_e32 v1, 0
	v_lshlrev_b64 v[2:3], 3, v[0:1]
                                        ; implicit-def: $vgpr18_vgpr19
                                        ; implicit-def: $vgpr16_vgpr17
	s_waitcnt lgkmcnt(0)
	v_mov_b32_e32 v1, s17
	v_add_co_u32_e32 v0, vcc, s16, v2
	v_addc_co_u32_e32 v1, vcc, v1, v3, vcc
	global_load_dwordx2 v[0:1], v[0:1], off
	s_load_dwordx4 s[12:15], s[4:5], 0x30
	s_load_dwordx4 s[8:11], s[4:5], 0x60
	v_mov_b32_e32 v5, s1
	v_add_co_u32_e32 v4, vcc, s0, v2
	v_addc_co_u32_e32 v5, vcc, v5, v3, vcc
	s_waitcnt lgkmcnt(0)
	v_mov_b32_e32 v7, s13
	global_load_dwordx2 v[4:5], v[4:5], off
	v_add_co_u32_e32 v6, vcc, s12, v2
	s_lshl_b64 s[6:7], s[18:19], 3
	v_addc_co_u32_e32 v7, vcc, v7, v3, vcc
	v_mov_b32_e32 v11, s7
	global_load_dwordx2 v[8:9], v[6:7], off
	v_mov_b32_e32 v10, s9
	s_lshl_b64 s[0:1], s[2:3], 3
	v_mov_b32_e32 v7, s1
	s_waitcnt vmcnt(2)
	v_add_co_u32_e32 v12, vcc, s6, v0
	v_addc_co_u32_e32 v13, vcc, v1, v11, vcc
	flat_load_dwordx2 v[20:21], v[12:13]
	v_add_co_u32_e32 v0, vcc, s8, v2
	v_addc_co_u32_e32 v1, vcc, v10, v3, vcc
	global_load_dwordx2 v[0:1], v[0:1], off
	s_waitcnt vmcnt(0)
	v_add_co_u32_e32 v6, vcc, s0, v4
	v_addc_co_u32_e32 v7, vcc, v5, v7, vcc
	s_lshl_b64 s[0:1], s[14:15], 3
	v_mov_b32_e32 v4, s1
	v_add_co_u32_e32 v14, vcc, s0, v8
	v_addc_co_u32_e32 v15, vcc, v9, v4, vcc
	s_lshl_b64 s[0:1], s[10:11], 3
	v_mov_b32_e32 v5, s1
                                        ; implicit-def: $vgpr10_vgpr11
	s_waitcnt lgkmcnt(0)
	v_cmp_ngt_f64_e32 vcc, 0, v[20:21]
	v_add_co_u32_e64 v4, s[0:1], s0, v0
	v_addc_co_u32_e64 v5, s[0:1], v1, v5, s[0:1]
	s_mov_b64 s[0:1], 0
                                        ; implicit-def: $vgpr0_vgpr1
	s_and_saveexec_b64 s[2:3], vcc
	s_xor_b64 s[6:7], exec, s[2:3]
	s_cbranch_execnz .LBB3_5
; %bb.2:
	s_andn2_saveexec_b64 s[2:3], s[6:7]
	s_cbranch_execnz .LBB3_36
.LBB3_3:
	s_or_b64 exec, exec, s[2:3]
	s_and_b64 exec, exec, s[0:1]
	s_cbranch_execnz .LBB3_37
.LBB3_4:
	s_endpgm
.LBB3_5:
	s_load_dwordx4 s[0:3], s[4:5], 0x48
	s_waitcnt lgkmcnt(0)
	v_mov_b32_e32 v1, s1
	v_add_co_u32_e32 v0, vcc, s0, v2
	v_addc_co_u32_e32 v1, vcc, v1, v3, vcc
	global_load_dwordx2 v[0:1], v[0:1], off
	s_lshl_b64 s[0:1], s[2:3], 3
	v_mov_b32_e32 v2, s1
	s_waitcnt vmcnt(0)
	v_add_co_u32_e32 v24, vcc, s0, v0
	v_addc_co_u32_e32 v25, vcc, v1, v2, vcc
	flat_load_dwordx2 v[26:27], v[6:7]
	flat_load_dwordx2 v[22:23], v[24:25]
	s_waitcnt vmcnt(0) lgkmcnt(0)
	v_mul_f64 v[8:9], v[26:27], v[22:23]
	v_cmp_eq_f64_e32 vcc, 0, v[8:9]
	s_and_saveexec_b64 s[0:1], vcc
	s_xor_b64 s[0:1], exec, s[0:1]
	s_cbranch_execz .LBB3_7
; %bb.6:
	v_mov_b32_e32 v0, 0
	v_mov_b32_e32 v1, -2.0
	flat_store_dwordx2 v[4:5], v[0:1]
                                        ; implicit-def: $vgpr6_vgpr7
                                        ; implicit-def: $vgpr12_vgpr13
                                        ; implicit-def: $vgpr14_vgpr15
                                        ; implicit-def: $vgpr20_vgpr21
                                        ; implicit-def: $vgpr22_vgpr23
                                        ; implicit-def: $vgpr26_vgpr27
                                        ; implicit-def: $vgpr24_vgpr25
.LBB3_7:
	s_or_saveexec_b64 s[4:5], s[0:1]
	v_mov_b32_e32 v0, 0
	v_mov_b32_e32 v18, 0
	;; [unrolled: 1-line block ×6, first 2 shown]
	v_mov_b32_e32 v19, -2.0
	v_mov_b32_e32 v3, 0
	v_mov_b32_e32 v17, 0
	;; [unrolled: 1-line block ×3, first 2 shown]
	s_xor_b64 exec, exec, s[4:5]
	s_cbranch_execz .LBB3_35
; %bb.8:
	flat_load_dwordx2 v[28:29], v[14:15]
	v_mul_f64 v[2:3], v[22:23], v[8:9]
                                        ; implicit-def: $vgpr18_vgpr19
                                        ; implicit-def: $vgpr10_vgpr11
	s_waitcnt vmcnt(0) lgkmcnt(0)
	v_mul_f64 v[30:31], v[20:21], v[28:29]
	v_mul_f64 v[0:1], v[28:29], v[30:31]
	v_cmp_ngt_f64_e64 s[0:1], |v[0:1]|, |v[2:3]|
                                        ; implicit-def: $vgpr0_vgpr1
	s_and_saveexec_b64 s[2:3], s[0:1]
	s_xor_b64 s[2:3], exec, s[2:3]
	s_cbranch_execz .LBB3_14
; %bb.9:
	v_cmp_ngt_f64_e32 vcc, 0, v[2:3]
                                        ; implicit-def: $vgpr0_vgpr1
                                        ; implicit-def: $vgpr10_vgpr11
	s_and_saveexec_b64 s[0:1], vcc
	s_xor_b64 s[8:9], exec, s[0:1]
	s_cbranch_execz .LBB3_11
; %bb.10:
	v_div_scale_f64 v[0:1], s[0:1], v[8:9], v[8:9], v[30:31]
	v_div_scale_f64 v[2:3], s[0:1], v[22:23], v[22:23], v[28:29]
	v_rcp_f64_e32 v[10:11], v[0:1]
	v_rcp_f64_e32 v[16:17], v[2:3]
	v_fma_f64 v[18:19], -v[0:1], v[10:11], 1.0
	v_fma_f64 v[32:33], -v[2:3], v[16:17], 1.0
	v_fma_f64 v[10:11], v[10:11], v[18:19], v[10:11]
	v_fma_f64 v[16:17], v[16:17], v[32:33], v[16:17]
	v_div_scale_f64 v[32:33], vcc, v[30:31], v[8:9], v[30:31]
	v_fma_f64 v[18:19], -v[0:1], v[10:11], 1.0
	v_fma_f64 v[10:11], v[10:11], v[18:19], v[10:11]
	v_fma_f64 v[18:19], -v[2:3], v[16:17], 1.0
	v_fma_f64 v[16:17], v[16:17], v[18:19], v[16:17]
	v_mul_f64 v[18:19], v[32:33], v[10:11]
	v_fma_f64 v[0:1], -v[0:1], v[18:19], v[32:33]
	v_div_scale_f64 v[32:33], s[0:1], v[28:29], v[22:23], v[28:29]
	v_div_fmas_f64 v[0:1], v[0:1], v[10:11], v[18:19]
	s_mov_b64 vcc, s[0:1]
	v_mul_f64 v[34:35], v[32:33], v[16:17]
	v_div_fixup_f64 v[0:1], v[0:1], v[8:9], v[30:31]
	v_fma_f64 v[2:3], -v[2:3], v[34:35], v[32:33]
	v_div_fmas_f64 v[2:3], v[2:3], v[16:17], v[34:35]
	v_div_fixup_f64 v[10:11], v[2:3], v[22:23], v[28:29]
	v_fma_f64 v[2:3], v[10:11], v[0:1], 1.0
	v_div_scale_f64 v[16:17], s[0:1], v[2:3], v[2:3], v[26:27]
	v_div_scale_f64 v[28:29], vcc, v[26:27], v[2:3], v[26:27]
	v_rcp_f64_e32 v[18:19], v[16:17]
	v_fma_f64 v[22:23], -v[16:17], v[18:19], 1.0
	v_fma_f64 v[18:19], v[18:19], v[22:23], v[18:19]
	v_fma_f64 v[22:23], -v[16:17], v[18:19], 1.0
	v_fma_f64 v[18:19], v[18:19], v[22:23], v[18:19]
	v_div_scale_f64 v[22:23], s[0:1], v[2:3], v[2:3], v[20:21]
	v_mul_f64 v[30:31], v[28:29], v[18:19]
	v_fma_f64 v[16:17], -v[16:17], v[30:31], v[28:29]
	v_rcp_f64_e32 v[28:29], v[22:23]
	v_div_fmas_f64 v[16:17], v[16:17], v[18:19], v[30:31]
	v_div_scale_f64 v[18:19], vcc, v[20:21], v[2:3], v[20:21]
	v_fma_f64 v[32:33], -v[22:23], v[28:29], 1.0
	v_div_fixup_f64 v[16:17], v[16:17], v[2:3], v[26:27]
	v_fma_f64 v[28:29], v[28:29], v[32:33], v[28:29]
	v_fma_f64 v[30:31], -v[22:23], v[28:29], 1.0
	v_fma_f64 v[28:29], v[28:29], v[30:31], v[28:29]
	v_mul_f64 v[30:31], v[18:19], v[28:29]
	v_fma_f64 v[18:19], -v[22:23], v[30:31], v[18:19]
	v_div_fmas_f64 v[18:19], v[18:19], v[28:29], v[30:31]
	v_div_fixup_f64 v[18:19], v[18:19], v[2:3], v[20:21]
	flat_store_dwordx2 v[6:7], v[18:19]
	flat_store_dwordx2 v[12:13], v[16:17]
	flat_load_dwordx2 v[16:17], v[24:25]
	s_waitcnt vmcnt(0) lgkmcnt(0)
	v_mul_f64 v[2:3], v[2:3], v[16:17]
	flat_store_dwordx2 v[14:15], v[2:3]
.LBB3_11:
	s_or_saveexec_b64 s[0:1], s[8:9]
	v_mov_b32_e32 v18, 0
	v_mov_b32_e32 v19, 0x3ff00000
	s_xor_b64 exec, exec, s[0:1]
	s_cbranch_execz .LBB3_13
; %bb.12:
	s_mov_b32 s8, 0
	s_mov_b32 s9, s8
	v_mov_b32_e32 v2, s8
	v_mov_b32_e32 v0, 0
	;; [unrolled: 1-line block ×8, first 2 shown]
	flat_store_dwordx2 v[14:15], v[2:3]
	flat_store_dwordx2 v[6:7], v[2:3]
	;; [unrolled: 1-line block ×3, first 2 shown]
.LBB3_13:
	s_or_b64 exec, exec, s[0:1]
                                        ; implicit-def: $vgpr28_vgpr29
                                        ; implicit-def: $vgpr22_vgpr23
                                        ; implicit-def: $vgpr30_vgpr31
                                        ; implicit-def: $vgpr20_vgpr21
.LBB3_14:
	s_or_saveexec_b64 s[2:3], s[2:3]
	v_mov_b32_e32 v16, 0
	v_mov_b32_e32 v2, 0
	;; [unrolled: 1-line block ×4, first 2 shown]
	s_xor_b64 exec, exec, s[2:3]
	s_cbranch_execz .LBB3_18
; %bb.15:
	v_div_scale_f64 v[0:1], s[0:1], v[28:29], v[28:29], -v[22:23]
	v_div_scale_f64 v[2:3], s[0:1], v[30:31], v[30:31], v[8:9]
	v_div_scale_f64 v[26:27], s[0:1], v[8:9], v[30:31], v[8:9]
	v_rcp_f64_e32 v[10:11], v[0:1]
	v_rcp_f64_e32 v[16:17], v[2:3]
	v_fma_f64 v[18:19], -v[0:1], v[10:11], 1.0
	v_fma_f64 v[24:25], -v[2:3], v[16:17], 1.0
	v_fma_f64 v[10:11], v[10:11], v[18:19], v[10:11]
	v_div_scale_f64 v[18:19], vcc, -v[22:23], v[28:29], -v[22:23]
	v_fma_f64 v[16:17], v[16:17], v[24:25], v[16:17]
	v_fma_f64 v[24:25], -v[0:1], v[10:11], 1.0
	v_fma_f64 v[32:33], -v[2:3], v[16:17], 1.0
	v_fma_f64 v[10:11], v[10:11], v[24:25], v[10:11]
	v_fma_f64 v[16:17], v[16:17], v[32:33], v[16:17]
	v_mul_f64 v[24:25], v[18:19], v[10:11]
	v_mul_f64 v[32:33], v[26:27], v[16:17]
	v_fma_f64 v[0:1], -v[0:1], v[24:25], v[18:19]
	v_mov_b32_e32 v18, 0
	v_mov_b32_e32 v19, 0xbff00000
	v_fma_f64 v[2:3], -v[2:3], v[32:33], v[26:27]
	v_div_fmas_f64 v[0:1], v[0:1], v[10:11], v[24:25]
	s_mov_b64 vcc, s[0:1]
	v_div_fmas_f64 v[10:11], v[2:3], v[16:17], v[32:33]
	v_div_fixup_f64 v[2:3], v[0:1], v[28:29], -v[22:23]
	v_div_fixup_f64 v[16:17], v[10:11], v[30:31], v[8:9]
	v_fma_f64 v[0:1], -v[2:3], v[16:17], 1.0
	v_cmp_lt_f64_e32 vcc, 0, v[0:1]
	s_and_saveexec_b64 s[0:1], vcc
	s_cbranch_execz .LBB3_17
; %bb.16:
	v_div_scale_f64 v[10:11], s[8:9], v[0:1], v[0:1], v[20:21]
	v_rcp_f64_e32 v[18:19], v[10:11]
	v_fma_f64 v[22:23], -v[10:11], v[18:19], 1.0
	v_fma_f64 v[18:19], v[18:19], v[22:23], v[18:19]
	v_div_scale_f64 v[22:23], vcc, v[20:21], v[0:1], v[20:21]
	v_fma_f64 v[24:25], -v[10:11], v[18:19], 1.0
	v_fma_f64 v[18:19], v[18:19], v[24:25], v[18:19]
	v_mul_f64 v[24:25], v[22:23], v[18:19]
	v_fma_f64 v[10:11], -v[10:11], v[24:25], v[22:23]
	v_div_fmas_f64 v[10:11], v[10:11], v[18:19], v[24:25]
	v_div_fixup_f64 v[10:11], v[10:11], v[0:1], v[20:21]
	flat_store_dwordx2 v[12:13], v[10:11]
	flat_load_dwordx2 v[10:11], v[6:7]
	s_waitcnt vmcnt(0) lgkmcnt(0)
	v_div_scale_f64 v[18:19], s[8:9], v[0:1], v[0:1], v[10:11]
	v_div_scale_f64 v[24:25], vcc, v[10:11], v[0:1], v[10:11]
	v_rcp_f64_e32 v[20:21], v[18:19]
	v_fma_f64 v[22:23], -v[18:19], v[20:21], 1.0
	v_fma_f64 v[20:21], v[20:21], v[22:23], v[20:21]
	v_fma_f64 v[22:23], -v[18:19], v[20:21], 1.0
	v_fma_f64 v[20:21], v[20:21], v[22:23], v[20:21]
	v_mul_f64 v[22:23], v[24:25], v[20:21]
	v_fma_f64 v[18:19], -v[18:19], v[22:23], v[24:25]
	v_div_fmas_f64 v[18:19], v[18:19], v[20:21], v[22:23]
	v_div_fixup_f64 v[10:11], v[18:19], v[0:1], v[10:11]
	v_mov_b32_e32 v18, 0
	v_mov_b32_e32 v19, 0
	flat_store_dwordx2 v[6:7], v[10:11]
	flat_load_dwordx2 v[10:11], v[14:15]
	s_waitcnt vmcnt(0) lgkmcnt(0)
	v_mul_f64 v[0:1], v[0:1], v[10:11]
	flat_store_dwordx2 v[14:15], v[0:1]
.LBB3_17:
	s_or_b64 exec, exec, s[0:1]
	v_mov_b32_e32 v10, 0
	v_mov_b32_e32 v0, 0
	;; [unrolled: 1-line block ×4, first 2 shown]
.LBB3_18:
	s_or_b64 exec, exec, s[2:3]
	flat_load_dwordx2 v[20:21], v[12:13]
	s_waitcnt vmcnt(0) lgkmcnt(0)
	v_cmp_neq_f64_e32 vcc, 0, v[20:21]
	s_and_saveexec_b64 s[8:9], vcc
	s_cbranch_execz .LBB3_26
; %bb.19:
	s_mov_b32 s12, 0
	s_mov_b32 s14, 0
	;; [unrolled: 1-line block ×4, first 2 shown]
	v_cmp_ge_f64_e64 s[0:1], s[12:13], v[20:21]
	v_cmp_le_f64_e64 s[2:3], s[14:15], v[20:21]
	v_cmp_nge_f64_e32 vcc, s[12:13], v[20:21]
	s_or_b64 s[0:1], s[0:1], s[2:3]
	s_and_saveexec_b64 s[10:11], s[0:1]
	s_cbranch_execz .LBB3_25
; %bb.20:
	v_not_b32_e32 v24, 23
	v_cndmask_b32_e32 v22, 24, v24, vcc
	v_ldexp_f64 v[20:21], v[20:21], v22
	v_mov_b32_e32 v25, 0x3f300000
	v_mov_b32_e32 v26, 0x40b00000
	;; [unrolled: 1-line block ×3, first 2 shown]
	flat_store_dwordx2 v[12:13], v[20:21]
	flat_load_dwordx2 v[22:23], v[14:15]
	v_mov_b32_e32 v20, 0
	v_cndmask_b32_e32 v21, v25, v26, vcc
	v_cmp_eq_f64_e32 vcc, 0, v[18:19]
	v_mov_b32_e32 v18, 0xbff00000
	v_cndmask_b32_e32 v17, v27, v17, vcc
	v_cndmask_b32_e32 v16, 0, v16, vcc
	;; [unrolled: 1-line block ×3, first 2 shown]
	v_cndmask_b32_e64 v0, v0, 0, vcc
	v_mul_f64 v[0:1], v[0:1], v[20:21]
	v_mul_f64 v[16:17], v[16:17], v[20:21]
	v_cndmask_b32_e32 v11, v11, v27, vcc
	v_cndmask_b32_e64 v10, v10, 0, vcc
	v_cndmask_b32_e32 v3, v18, v3, vcc
	v_cndmask_b32_e32 v2, 0, v2, vcc
	s_waitcnt vmcnt(0) lgkmcnt(0)
	v_mul_f64 v[22:23], v[20:21], v[22:23]
	flat_store_dwordx2 v[14:15], v[22:23]
	flat_load_dwordx2 v[22:23], v[12:13]
	s_waitcnt vmcnt(0) lgkmcnt(0)
	v_cmp_ge_f64_e64 s[0:1], s[12:13], v[22:23]
	v_cmp_le_f64_e64 s[2:3], s[14:15], v[22:23]
	v_cmp_nge_f64_e64 s[14:15], s[12:13], v[22:23]
	s_mov_b64 s[12:13], 0
	s_or_b64 s[2:3], s[0:1], s[2:3]
	s_and_saveexec_b64 s[0:1], s[2:3]
	s_cbranch_execz .LBB3_24
; %bb.21:
	s_mov_b32 s2, 0
	s_mov_b32 s16, 0
	;; [unrolled: 1-line block ×4, first 2 shown]
.LBB3_22:                               ; =>This Inner Loop Header: Depth=1
	v_cndmask_b32_e64 v2, 24, v24, s[14:15]
	v_ldexp_f64 v[2:3], v[22:23], v2
	v_cndmask_b32_e64 v21, v25, v26, s[14:15]
	v_mul_f64 v[0:1], v[20:21], v[0:1]
	flat_store_dwordx2 v[12:13], v[2:3]
	flat_load_dwordx2 v[2:3], v[14:15]
	s_waitcnt vmcnt(0) lgkmcnt(0)
	v_mul_f64 v[2:3], v[20:21], v[2:3]
	flat_store_dwordx2 v[14:15], v[2:3]
	flat_load_dwordx2 v[22:23], v[12:13]
	s_waitcnt vmcnt(0) lgkmcnt(0)
	v_cmp_nge_f64_e64 s[14:15], s[2:3], v[22:23]
	v_cmp_nle_f64_e32 vcc, s[16:17], v[22:23]
	s_and_b64 s[18:19], s[14:15], vcc
	s_and_b64 s[18:19], exec, s[18:19]
	s_or_b64 s[12:13], s[18:19], s[12:13]
	s_andn2_b64 exec, exec, s[12:13]
	s_cbranch_execnz .LBB3_22
; %bb.23:
	s_or_b64 exec, exec, s[12:13]
	v_mov_b32_e32 v2, 0
	v_mov_b32_e32 v16, v20
	;; [unrolled: 1-line block ×4, first 2 shown]
.LBB3_24:
	s_or_b64 exec, exec, s[0:1]
	v_mov_b32_e32 v18, 0
	v_mov_b32_e32 v19, 0xbff00000
.LBB3_25:
	s_or_b64 exec, exec, s[10:11]
.LBB3_26:
	s_or_b64 exec, exec, s[8:9]
	flat_load_dwordx2 v[12:13], v[6:7]
	s_waitcnt vmcnt(0) lgkmcnt(0)
	v_cmp_neq_f64_e32 vcc, 0, v[12:13]
	s_and_saveexec_b64 s[8:9], vcc
	s_cbranch_execz .LBB3_34
; %bb.27:
	v_cmp_gt_f64_e32 vcc, 0, v[12:13]
	v_xor_b32_e32 v14, 0x80000000, v13
	s_mov_b32 s12, 0
	s_mov_b32 s14, 0
	;; [unrolled: 1-line block ×4, first 2 shown]
	v_cndmask_b32_e32 v15, v13, v14, vcc
	v_mov_b32_e32 v14, v12
	v_cmp_ge_f64_e64 s[0:1], s[12:13], v[14:15]
	v_cmp_le_f64_e64 s[2:3], s[14:15], v[14:15]
	v_cmp_nge_f64_e32 vcc, s[12:13], v[14:15]
	s_or_b64 s[0:1], s[0:1], s[2:3]
	s_and_saveexec_b64 s[10:11], s[0:1]
	s_cbranch_execz .LBB3_33
; %bb.28:
	v_not_b32_e32 v15, 23
	v_cmp_eq_f64_e64 s[0:1], 0, v[18:19]
	v_cndmask_b32_e32 v15, 24, v15, vcc
	v_ldexp_f64 v[12:13], v[12:13], v15
	v_mov_b32_e32 v14, 0xbff00000
	v_mov_b32_e32 v15, 0x40b00000
	;; [unrolled: 1-line block ×3, first 2 shown]
	v_cndmask_b32_e64 v3, v14, v3, s[0:1]
	v_mov_b32_e32 v14, 0x3f300000
	v_cndmask_b32_e32 v15, v14, v15, vcc
	v_cmp_gt_f64_e32 vcc, 0, v[12:13]
	v_xor_b32_e32 v18, 0x80000000, v13
	v_cndmask_b32_e64 v11, v11, v20, s[0:1]
	v_cndmask_b32_e64 v10, v10, 0, s[0:1]
	;; [unrolled: 1-line block ×3, first 2 shown]
	v_mov_b32_e32 v14, 0
	v_mul_f64 v[2:3], v[2:3], v[14:15]
	v_mul_f64 v[10:11], v[10:11], v[14:15]
	v_cndmask_b32_e32 v19, v13, v18, vcc
	v_mov_b32_e32 v18, v12
	v_cmp_ge_f64_e32 vcc, s[12:13], v[18:19]
	v_cmp_le_f64_e64 s[2:3], s[14:15], v[18:19]
	v_cndmask_b32_e64 v17, v20, v17, s[0:1]
	v_cndmask_b32_e64 v16, 0, v16, s[0:1]
	;; [unrolled: 1-line block ×4, first 2 shown]
	flat_store_dwordx2 v[6:7], v[12:13]
	s_or_b64 s[0:1], vcc, s[2:3]
	s_and_saveexec_b64 s[2:3], s[0:1]
	s_cbranch_execz .LBB3_32
; %bb.29:
	v_cmp_nge_f64_e32 vcc, s[12:13], v[18:19]
	s_mov_b32 s14, 0
	s_mov_b32 s16, 0
	s_mov_b64 s[12:13], 0
	s_mov_b32 s15, 0x3e700000
	s_mov_b32 s17, 0x41700000
	v_mov_b32_e32 v2, 0x41700000
	v_mov_b32_e32 v3, 0x3e700000
	s_and_b64 s[20:21], vcc, exec
                                        ; implicit-def: $sgpr18_sgpr19
.LBB3_30:                               ; =>This Inner Loop Header: Depth=1
	v_cndmask_b32_e64 v15, v2, v3, s[20:21]
	v_mul_f64 v[12:13], v[14:15], v[12:13]
	v_cmp_gt_f64_e32 vcc, 0, v[12:13]
	v_xor_b32_e32 v16, 0x80000000, v13
	v_mov_b32_e32 v15, v12
	v_cndmask_b32_e32 v16, v13, v16, vcc
	v_cmp_nge_f64_e32 vcc, s[14:15], v[15:16]
	v_cmp_nle_f64_e64 s[0:1], s[16:17], v[15:16]
	v_cndmask_b32_e64 v15, -12, 12, s[20:21]
	v_ldexp_f64 v[10:11], v[10:11], v15
	s_and_b64 s[0:1], vcc, s[0:1]
	s_and_b64 s[0:1], exec, s[0:1]
	s_or_b64 s[12:13], s[0:1], s[12:13]
	s_andn2_b64 s[0:1], s[20:21], exec
	s_and_b64 s[22:23], vcc, exec
	s_andn2_b64 s[18:19], s[18:19], exec
	s_and_b64 s[20:21], s[20:21], exec
	s_or_b64 s[0:1], s[0:1], s[22:23]
	s_or_b64 s[18:19], s[18:19], s[20:21]
	s_mov_b64 s[20:21], s[0:1]
	s_andn2_b64 exec, exec, s[12:13]
	s_cbranch_execnz .LBB3_30
; %bb.31:
	s_or_b64 exec, exec, s[12:13]
	v_mov_b32_e32 v2, 0xbf300000
	v_mov_b32_e32 v3, 0xc0b00000
	;; [unrolled: 1-line block ×3, first 2 shown]
	v_cndmask_b32_e64 v3, v2, v3, s[18:19]
	v_mov_b32_e32 v2, 0
	v_mov_b32_e32 v17, 0x3ff00000
	flat_store_dwordx2 v[6:7], v[12:13]
.LBB3_32:
	s_or_b64 exec, exec, s[2:3]
	v_mov_b32_e32 v18, 0
	v_mov_b32_e32 v19, 0xbff00000
.LBB3_33:
	s_or_b64 exec, exec, s[10:11]
.LBB3_34:
	s_or_b64 exec, exec, s[8:9]
.LBB3_35:
	s_or_b64 exec, exec, s[4:5]
	v_cmp_neq_f64_e32 vcc, 0, v[8:9]
                                        ; implicit-def: $vgpr14_vgpr15
                                        ; implicit-def: $vgpr6_vgpr7
                                        ; implicit-def: $vgpr12_vgpr13
	s_and_b64 s[0:1], vcc, exec
	s_andn2_saveexec_b64 s[2:3], s[6:7]
	s_cbranch_execz .LBB3_3
.LBB3_36:
	s_mov_b32 s4, 0
	s_mov_b32 s5, s4
	v_mov_b32_e32 v0, s4
	v_mov_b32_e32 v1, s5
	flat_store_dwordx2 v[14:15], v[0:1]
	flat_store_dwordx2 v[6:7], v[0:1]
	;; [unrolled: 1-line block ×3, first 2 shown]
	v_mov_b32_e32 v0, 0
	v_mov_b32_e32 v18, 0
	;; [unrolled: 1-line block ×10, first 2 shown]
	s_or_b64 s[0:1], s[0:1], exec
	s_or_b64 exec, exec, s[2:3]
	s_and_b64 exec, exec, s[0:1]
	s_cbranch_execz .LBB3_4
.LBB3_37:
	v_cmp_ngt_f64_e32 vcc, 0, v[18:19]
                                        ; implicit-def: $vgpr8_vgpr9
                                        ; implicit-def: $vgpr12_vgpr13
                                        ; implicit-def: $vgpr6_vgpr7
	s_and_saveexec_b64 s[0:1], vcc
	s_xor_b64 s[0:1], exec, s[0:1]
	s_cbranch_execz .LBB3_39
; %bb.38:
	v_cmp_eq_f64_e32 vcc, 0, v[18:19]
	v_mov_b32_e32 v7, 0
	v_mov_b32_e32 v9, v7
	v_cndmask_b32_e64 v6, 8, 16, vcc
	v_cndmask_b32_e32 v13, v1, v3, vcc
	v_cndmask_b32_e32 v12, v0, v2, vcc
	v_cndmask_b32_e64 v8, 32, 24, vcc
	v_cndmask_b32_e32 v11, v11, v17, vcc
	v_cndmask_b32_e32 v10, v10, v16, vcc
                                        ; implicit-def: $vgpr0_vgpr1
                                        ; implicit-def: $vgpr16_vgpr17
.LBB3_39:
	s_andn2_saveexec_b64 s[0:1], s[0:1]
	s_cbranch_execz .LBB3_41
; %bb.40:
	v_mov_b32_e32 v8, 32
	v_mov_b32_e32 v6, 24
	;; [unrolled: 1-line block ×6, first 2 shown]
	flat_store_dwordx4 v[4:5], v[0:3] offset:8
.LBB3_41:
	s_or_b64 exec, exec, s[0:1]
	v_add_co_u32_e32 v0, vcc, v4, v6
	v_addc_co_u32_e32 v1, vcc, v5, v7, vcc
	flat_store_dwordx2 v[0:1], v[12:13]
	v_add_co_u32_e32 v0, vcc, v4, v8
	v_addc_co_u32_e32 v1, vcc, v5, v9, vcc
	flat_store_dwordx2 v[0:1], v[10:11]
	flat_store_dwordx2 v[4:5], v[18:19]
	s_endpgm
	.section	.rodata,"a",@progbits
	.p2align	6, 0x0
	.amdhsa_kernel _ZL20rocblas_rotmg_kernelILi32EPKPdPKPKdEvT0_llS7_llS7_llT1_llS7_lli
		.amdhsa_group_segment_fixed_size 0
		.amdhsa_private_segment_fixed_size 0
		.amdhsa_kernarg_size 124
		.amdhsa_user_sgpr_count 6
		.amdhsa_user_sgpr_private_segment_buffer 1
		.amdhsa_user_sgpr_dispatch_ptr 0
		.amdhsa_user_sgpr_queue_ptr 0
		.amdhsa_user_sgpr_kernarg_segment_ptr 1
		.amdhsa_user_sgpr_dispatch_id 0
		.amdhsa_user_sgpr_flat_scratch_init 0
		.amdhsa_user_sgpr_private_segment_size 0
		.amdhsa_uses_dynamic_stack 0
		.amdhsa_system_sgpr_private_segment_wavefront_offset 0
		.amdhsa_system_sgpr_workgroup_id_x 1
		.amdhsa_system_sgpr_workgroup_id_y 0
		.amdhsa_system_sgpr_workgroup_id_z 0
		.amdhsa_system_sgpr_workgroup_info 0
		.amdhsa_system_vgpr_workitem_id 0
		.amdhsa_next_free_vgpr 36
		.amdhsa_next_free_sgpr 24
		.amdhsa_reserve_vcc 1
		.amdhsa_reserve_flat_scratch 0
		.amdhsa_float_round_mode_32 0
		.amdhsa_float_round_mode_16_64 0
		.amdhsa_float_denorm_mode_32 3
		.amdhsa_float_denorm_mode_16_64 3
		.amdhsa_dx10_clamp 1
		.amdhsa_ieee_mode 1
		.amdhsa_fp16_overflow 0
		.amdhsa_exception_fp_ieee_invalid_op 0
		.amdhsa_exception_fp_denorm_src 0
		.amdhsa_exception_fp_ieee_div_zero 0
		.amdhsa_exception_fp_ieee_overflow 0
		.amdhsa_exception_fp_ieee_underflow 0
		.amdhsa_exception_fp_ieee_inexact 0
		.amdhsa_exception_int_div_zero 0
	.end_amdhsa_kernel
	.section	.text._ZL20rocblas_rotmg_kernelILi32EPKPdPKPKdEvT0_llS7_llS7_llT1_llS7_lli,"axG",@progbits,_ZL20rocblas_rotmg_kernelILi32EPKPdPKPKdEvT0_llS7_llS7_llT1_llS7_lli,comdat
.Lfunc_end3:
	.size	_ZL20rocblas_rotmg_kernelILi32EPKPdPKPKdEvT0_llS7_llS7_llT1_llS7_lli, .Lfunc_end3-_ZL20rocblas_rotmg_kernelILi32EPKPdPKPKdEvT0_llS7_llS7_llT1_llS7_lli
                                        ; -- End function
	.set _ZL20rocblas_rotmg_kernelILi32EPKPdPKPKdEvT0_llS7_llS7_llT1_llS7_lli.num_vgpr, 36
	.set _ZL20rocblas_rotmg_kernelILi32EPKPdPKPKdEvT0_llS7_llS7_llT1_llS7_lli.num_agpr, 0
	.set _ZL20rocblas_rotmg_kernelILi32EPKPdPKPKdEvT0_llS7_llS7_llT1_llS7_lli.numbered_sgpr, 24
	.set _ZL20rocblas_rotmg_kernelILi32EPKPdPKPKdEvT0_llS7_llS7_llT1_llS7_lli.num_named_barrier, 0
	.set _ZL20rocblas_rotmg_kernelILi32EPKPdPKPKdEvT0_llS7_llS7_llT1_llS7_lli.private_seg_size, 0
	.set _ZL20rocblas_rotmg_kernelILi32EPKPdPKPKdEvT0_llS7_llS7_llT1_llS7_lli.uses_vcc, 1
	.set _ZL20rocblas_rotmg_kernelILi32EPKPdPKPKdEvT0_llS7_llS7_llT1_llS7_lli.uses_flat_scratch, 0
	.set _ZL20rocblas_rotmg_kernelILi32EPKPdPKPKdEvT0_llS7_llS7_llT1_llS7_lli.has_dyn_sized_stack, 0
	.set _ZL20rocblas_rotmg_kernelILi32EPKPdPKPKdEvT0_llS7_llS7_llT1_llS7_lli.has_recursion, 0
	.set _ZL20rocblas_rotmg_kernelILi32EPKPdPKPKdEvT0_llS7_llS7_llT1_llS7_lli.has_indirect_call, 0
	.section	.AMDGPU.csdata,"",@progbits
; Kernel info:
; codeLenInByte = 2784
; TotalNumSgprs: 28
; NumVgprs: 36
; ScratchSize: 0
; MemoryBound: 0
; FloatMode: 240
; IeeeMode: 1
; LDSByteSize: 0 bytes/workgroup (compile time only)
; SGPRBlocks: 3
; VGPRBlocks: 8
; NumSGPRsForWavesPerEU: 28
; NumVGPRsForWavesPerEU: 36
; Occupancy: 7
; WaveLimiterHint : 1
; COMPUTE_PGM_RSRC2:SCRATCH_EN: 0
; COMPUTE_PGM_RSRC2:USER_SGPR: 6
; COMPUTE_PGM_RSRC2:TRAP_HANDLER: 0
; COMPUTE_PGM_RSRC2:TGID_X_EN: 1
; COMPUTE_PGM_RSRC2:TGID_Y_EN: 0
; COMPUTE_PGM_RSRC2:TGID_Z_EN: 0
; COMPUTE_PGM_RSRC2:TIDIG_COMP_CNT: 0
	.section	.AMDGPU.gpr_maximums,"",@progbits
	.set amdgpu.max_num_vgpr, 0
	.set amdgpu.max_num_agpr, 0
	.set amdgpu.max_num_sgpr, 0
	.section	.AMDGPU.csdata,"",@progbits
	.type	__hip_cuid_d7e2406ac6d0b9d9,@object ; @__hip_cuid_d7e2406ac6d0b9d9
	.section	.bss,"aw",@nobits
	.globl	__hip_cuid_d7e2406ac6d0b9d9
__hip_cuid_d7e2406ac6d0b9d9:
	.byte	0                               ; 0x0
	.size	__hip_cuid_d7e2406ac6d0b9d9, 1

	.ident	"AMD clang version 22.0.0git (https://github.com/RadeonOpenCompute/llvm-project roc-7.2.4 26084 f58b06dce1f9c15707c5f808fd002e18c2accf7e)"
	.section	".note.GNU-stack","",@progbits
	.addrsig
	.addrsig_sym __hip_cuid_d7e2406ac6d0b9d9
	.amdgpu_metadata
---
amdhsa.kernels:
  - .args:
      - .address_space:  global
        .offset:         0
        .size:           8
        .value_kind:     global_buffer
      - .offset:         8
        .size:           8
        .value_kind:     by_value
      - .offset:         16
        .size:           8
        .value_kind:     by_value
      - .address_space:  global
        .offset:         24
        .size:           8
        .value_kind:     global_buffer
      - .offset:         32
        .size:           8
        .value_kind:     by_value
      - .offset:         40
        .size:           8
        .value_kind:     by_value
      - .address_space:  global
        .offset:         48
        .size:           8
        .value_kind:     global_buffer
      - .offset:         56
        .size:           8
        .value_kind:     by_value
      - .offset:         64
        .size:           8
        .value_kind:     by_value
      - .address_space:  global
        .offset:         72
        .size:           8
        .value_kind:     global_buffer
      - .offset:         80
        .size:           8
        .value_kind:     by_value
      - .offset:         88
        .size:           8
        .value_kind:     by_value
      - .address_space:  global
        .offset:         96
        .size:           8
        .value_kind:     global_buffer
      - .offset:         104
        .size:           8
        .value_kind:     by_value
      - .offset:         112
        .size:           8
        .value_kind:     by_value
      - .offset:         120
        .size:           4
        .value_kind:     by_value
    .group_segment_fixed_size: 0
    .kernarg_segment_align: 8
    .kernarg_segment_size: 124
    .language:       OpenCL C
    .language_version:
      - 2
      - 0
    .max_flat_workgroup_size: 32
    .name:           _ZL20rocblas_rotmg_kernelILi32EPfPKfEvT0_llS3_llS3_llT1_llS3_lli
    .private_segment_fixed_size: 0
    .sgpr_count:     48
    .sgpr_spill_count: 0
    .symbol:         _ZL20rocblas_rotmg_kernelILi32EPfPKfEvT0_llS3_llS3_llT1_llS3_lli.kd
    .uniform_work_group_size: 1
    .uses_dynamic_stack: false
    .vgpr_count:     23
    .vgpr_spill_count: 0
    .wavefront_size: 64
  - .args:
      - .address_space:  global
        .offset:         0
        .size:           8
        .value_kind:     global_buffer
      - .offset:         8
        .size:           8
        .value_kind:     by_value
      - .offset:         16
        .size:           8
        .value_kind:     by_value
      - .address_space:  global
        .offset:         24
        .size:           8
        .value_kind:     global_buffer
      - .offset:         32
        .size:           8
        .value_kind:     by_value
      - .offset:         40
        .size:           8
        .value_kind:     by_value
      - .address_space:  global
        .offset:         48
        .size:           8
        .value_kind:     global_buffer
      - .offset:         56
        .size:           8
        .value_kind:     by_value
      - .offset:         64
        .size:           8
        .value_kind:     by_value
      - .address_space:  global
        .offset:         72
        .size:           8
        .value_kind:     global_buffer
      - .offset:         80
        .size:           8
        .value_kind:     by_value
      - .offset:         88
        .size:           8
        .value_kind:     by_value
      - .address_space:  global
        .offset:         96
        .size:           8
        .value_kind:     global_buffer
      - .offset:         104
        .size:           8
        .value_kind:     by_value
      - .offset:         112
        .size:           8
        .value_kind:     by_value
      - .offset:         120
        .size:           4
        .value_kind:     by_value
    .group_segment_fixed_size: 0
    .kernarg_segment_align: 8
    .kernarg_segment_size: 124
    .language:       OpenCL C
    .language_version:
      - 2
      - 0
    .max_flat_workgroup_size: 32
    .name:           _ZL20rocblas_rotmg_kernelILi32EPdPKdEvT0_llS3_llS3_llT1_llS3_lli
    .private_segment_fixed_size: 0
    .sgpr_count:     48
    .sgpr_spill_count: 0
    .symbol:         _ZL20rocblas_rotmg_kernelILi32EPdPKdEvT0_llS3_llS3_llT1_llS3_lli.kd
    .uniform_work_group_size: 1
    .uses_dynamic_stack: false
    .vgpr_count:     32
    .vgpr_spill_count: 0
    .wavefront_size: 64
  - .args:
      - .address_space:  global
        .offset:         0
        .size:           8
        .value_kind:     global_buffer
      - .offset:         8
        .size:           8
        .value_kind:     by_value
      - .offset:         16
        .size:           8
        .value_kind:     by_value
      - .address_space:  global
        .offset:         24
        .size:           8
        .value_kind:     global_buffer
      - .offset:         32
        .size:           8
        .value_kind:     by_value
      - .offset:         40
        .size:           8
        .value_kind:     by_value
      - .address_space:  global
        .offset:         48
        .size:           8
        .value_kind:     global_buffer
      - .offset:         56
        .size:           8
        .value_kind:     by_value
      - .offset:         64
        .size:           8
        .value_kind:     by_value
      - .address_space:  global
        .offset:         72
        .size:           8
        .value_kind:     global_buffer
      - .offset:         80
        .size:           8
        .value_kind:     by_value
      - .offset:         88
        .size:           8
        .value_kind:     by_value
      - .address_space:  global
        .offset:         96
        .size:           8
        .value_kind:     global_buffer
      - .offset:         104
        .size:           8
        .value_kind:     by_value
      - .offset:         112
        .size:           8
        .value_kind:     by_value
      - .offset:         120
        .size:           4
        .value_kind:     by_value
    .group_segment_fixed_size: 0
    .kernarg_segment_align: 8
    .kernarg_segment_size: 124
    .language:       OpenCL C
    .language_version:
      - 2
      - 0
    .max_flat_workgroup_size: 32
    .name:           _ZL20rocblas_rotmg_kernelILi32EPKPfPKPKfEvT0_llS7_llS7_llT1_llS7_lli
    .private_segment_fixed_size: 0
    .sgpr_count:     26
    .sgpr_spill_count: 0
    .symbol:         _ZL20rocblas_rotmg_kernelILi32EPKPfPKPKfEvT0_llS7_llS7_llT1_llS7_lli.kd
    .uniform_work_group_size: 1
    .uses_dynamic_stack: false
    .vgpr_count:     23
    .vgpr_spill_count: 0
    .wavefront_size: 64
  - .args:
      - .address_space:  global
        .offset:         0
        .size:           8
        .value_kind:     global_buffer
      - .offset:         8
        .size:           8
        .value_kind:     by_value
      - .offset:         16
        .size:           8
        .value_kind:     by_value
      - .address_space:  global
        .offset:         24
        .size:           8
        .value_kind:     global_buffer
      - .offset:         32
        .size:           8
        .value_kind:     by_value
      - .offset:         40
        .size:           8
        .value_kind:     by_value
      - .address_space:  global
        .offset:         48
        .size:           8
        .value_kind:     global_buffer
      - .offset:         56
        .size:           8
        .value_kind:     by_value
      - .offset:         64
        .size:           8
        .value_kind:     by_value
      - .address_space:  global
        .offset:         72
        .size:           8
        .value_kind:     global_buffer
      - .offset:         80
        .size:           8
        .value_kind:     by_value
      - .offset:         88
        .size:           8
        .value_kind:     by_value
      - .address_space:  global
        .offset:         96
        .size:           8
        .value_kind:     global_buffer
      - .offset:         104
        .size:           8
        .value_kind:     by_value
      - .offset:         112
        .size:           8
        .value_kind:     by_value
      - .offset:         120
        .size:           4
        .value_kind:     by_value
    .group_segment_fixed_size: 0
    .kernarg_segment_align: 8
    .kernarg_segment_size: 124
    .language:       OpenCL C
    .language_version:
      - 2
      - 0
    .max_flat_workgroup_size: 32
    .name:           _ZL20rocblas_rotmg_kernelILi32EPKPdPKPKdEvT0_llS7_llS7_llT1_llS7_lli
    .private_segment_fixed_size: 0
    .sgpr_count:     28
    .sgpr_spill_count: 0
    .symbol:         _ZL20rocblas_rotmg_kernelILi32EPKPdPKPKdEvT0_llS7_llS7_llT1_llS7_lli.kd
    .uniform_work_group_size: 1
    .uses_dynamic_stack: false
    .vgpr_count:     36
    .vgpr_spill_count: 0
    .wavefront_size: 64
amdhsa.target:   amdgcn-amd-amdhsa--gfx906
amdhsa.version:
  - 1
  - 2
...

	.end_amdgpu_metadata
